;; amdgpu-corpus repo=ParRes/Kernels kind=compiled arch=gfx1030 opt=O3
	.text
	.amdgcn_target "amdgcn-amd-amdhsa--gfx1030"
	.amdhsa_code_object_version 6
	.section	.text._ZN6thrust11hip_rocprim14__parallel_for6kernelILj256ENS0_20__uninitialized_fill7functorINS_10device_ptrIdEEdEEmLj1EEEvT0_T1_S9_,"axG",@progbits,_ZN6thrust11hip_rocprim14__parallel_for6kernelILj256ENS0_20__uninitialized_fill7functorINS_10device_ptrIdEEdEEmLj1EEEvT0_T1_S9_,comdat
	.protected	_ZN6thrust11hip_rocprim14__parallel_for6kernelILj256ENS0_20__uninitialized_fill7functorINS_10device_ptrIdEEdEEmLj1EEEvT0_T1_S9_ ; -- Begin function _ZN6thrust11hip_rocprim14__parallel_for6kernelILj256ENS0_20__uninitialized_fill7functorINS_10device_ptrIdEEdEEmLj1EEEvT0_T1_S9_
	.globl	_ZN6thrust11hip_rocprim14__parallel_for6kernelILj256ENS0_20__uninitialized_fill7functorINS_10device_ptrIdEEdEEmLj1EEEvT0_T1_S9_
	.p2align	8
	.type	_ZN6thrust11hip_rocprim14__parallel_for6kernelILj256ENS0_20__uninitialized_fill7functorINS_10device_ptrIdEEdEEmLj1EEEvT0_T1_S9_,@function
_ZN6thrust11hip_rocprim14__parallel_for6kernelILj256ENS0_20__uninitialized_fill7functorINS_10device_ptrIdEEdEEmLj1EEEvT0_T1_S9_: ; @_ZN6thrust11hip_rocprim14__parallel_for6kernelILj256ENS0_20__uninitialized_fill7functorINS_10device_ptrIdEEdEEmLj1EEEvT0_T1_S9_
; %bb.0:
	s_load_dwordx8 s[8:15], s[4:5], 0x0
	s_lshl_b32 s0, s6, 8
	s_waitcnt lgkmcnt(0)
	s_add_u32 s0, s0, s14
	s_addc_u32 s1, 0, s15
	s_sub_u32 s2, s12, s0
	s_subb_u32 s3, s13, s1
	v_cmp_gt_u64_e64 s3, 0x100, s[2:3]
	s_and_b32 vcc_lo, exec_lo, s3
	s_mov_b32 s3, 0
	s_cbranch_vccz .LBB0_2
; %bb.1:
	v_cmp_gt_u32_e32 vcc_lo, s2, v0
	s_and_b32 s3, vcc_lo, exec_lo
	s_cbranch_execz .LBB0_3
	s_branch .LBB0_4
.LBB0_2:
.LBB0_3:
	s_or_b32 s3, s3, exec_lo
.LBB0_4:
	s_and_saveexec_b32 s2, s3
	s_cbranch_execnz .LBB0_6
; %bb.5:
	s_endpgm
.LBB0_6:
	v_mov_b32_e32 v1, 0
	s_lshl_b64 s[0:1], s[0:1], 3
	v_mov_b32_e32 v2, s10
	s_add_u32 s0, s8, s0
	s_addc_u32 s1, s9, s1
	v_lshlrev_b64 v[0:1], 3, v[0:1]
	v_mov_b32_e32 v3, s11
	v_add_co_u32 v0, vcc_lo, s0, v0
	v_add_co_ci_u32_e32 v1, vcc_lo, s1, v1, vcc_lo
	flat_store_dwordx2 v[0:1], v[2:3]
	s_endpgm
	.section	.rodata,"a",@progbits
	.p2align	6, 0x0
	.amdhsa_kernel _ZN6thrust11hip_rocprim14__parallel_for6kernelILj256ENS0_20__uninitialized_fill7functorINS_10device_ptrIdEEdEEmLj1EEEvT0_T1_S9_
		.amdhsa_group_segment_fixed_size 0
		.amdhsa_private_segment_fixed_size 0
		.amdhsa_kernarg_size 32
		.amdhsa_user_sgpr_count 6
		.amdhsa_user_sgpr_private_segment_buffer 1
		.amdhsa_user_sgpr_dispatch_ptr 0
		.amdhsa_user_sgpr_queue_ptr 0
		.amdhsa_user_sgpr_kernarg_segment_ptr 1
		.amdhsa_user_sgpr_dispatch_id 0
		.amdhsa_user_sgpr_flat_scratch_init 0
		.amdhsa_user_sgpr_private_segment_size 0
		.amdhsa_wavefront_size32 1
		.amdhsa_uses_dynamic_stack 0
		.amdhsa_system_sgpr_private_segment_wavefront_offset 0
		.amdhsa_system_sgpr_workgroup_id_x 1
		.amdhsa_system_sgpr_workgroup_id_y 0
		.amdhsa_system_sgpr_workgroup_id_z 0
		.amdhsa_system_sgpr_workgroup_info 0
		.amdhsa_system_vgpr_workitem_id 0
		.amdhsa_next_free_vgpr 4
		.amdhsa_next_free_sgpr 16
		.amdhsa_reserve_vcc 1
		.amdhsa_reserve_flat_scratch 0
		.amdhsa_float_round_mode_32 0
		.amdhsa_float_round_mode_16_64 0
		.amdhsa_float_denorm_mode_32 3
		.amdhsa_float_denorm_mode_16_64 3
		.amdhsa_dx10_clamp 1
		.amdhsa_ieee_mode 1
		.amdhsa_fp16_overflow 0
		.amdhsa_workgroup_processor_mode 1
		.amdhsa_memory_ordered 1
		.amdhsa_forward_progress 0
		.amdhsa_shared_vgpr_count 0
		.amdhsa_exception_fp_ieee_invalid_op 0
		.amdhsa_exception_fp_denorm_src 0
		.amdhsa_exception_fp_ieee_div_zero 0
		.amdhsa_exception_fp_ieee_overflow 0
		.amdhsa_exception_fp_ieee_underflow 0
		.amdhsa_exception_fp_ieee_inexact 0
		.amdhsa_exception_int_div_zero 0
	.end_amdhsa_kernel
	.section	.text._ZN6thrust11hip_rocprim14__parallel_for6kernelILj256ENS0_20__uninitialized_fill7functorINS_10device_ptrIdEEdEEmLj1EEEvT0_T1_S9_,"axG",@progbits,_ZN6thrust11hip_rocprim14__parallel_for6kernelILj256ENS0_20__uninitialized_fill7functorINS_10device_ptrIdEEdEEmLj1EEEvT0_T1_S9_,comdat
.Lfunc_end0:
	.size	_ZN6thrust11hip_rocprim14__parallel_for6kernelILj256ENS0_20__uninitialized_fill7functorINS_10device_ptrIdEEdEEmLj1EEEvT0_T1_S9_, .Lfunc_end0-_ZN6thrust11hip_rocprim14__parallel_for6kernelILj256ENS0_20__uninitialized_fill7functorINS_10device_ptrIdEEdEEmLj1EEEvT0_T1_S9_
                                        ; -- End function
	.section	.AMDGPU.csdata,"",@progbits
; Kernel info:
; codeLenInByte = 144
; NumSgprs: 18
; NumVgprs: 4
; ScratchSize: 0
; MemoryBound: 0
; FloatMode: 240
; IeeeMode: 1
; LDSByteSize: 0 bytes/workgroup (compile time only)
; SGPRBlocks: 2
; VGPRBlocks: 0
; NumSGPRsForWavesPerEU: 18
; NumVGPRsForWavesPerEU: 4
; Occupancy: 16
; WaveLimiterHint : 0
; COMPUTE_PGM_RSRC2:SCRATCH_EN: 0
; COMPUTE_PGM_RSRC2:USER_SGPR: 6
; COMPUTE_PGM_RSRC2:TRAP_HANDLER: 0
; COMPUTE_PGM_RSRC2:TGID_X_EN: 1
; COMPUTE_PGM_RSRC2:TGID_Y_EN: 0
; COMPUTE_PGM_RSRC2:TGID_Z_EN: 0
; COMPUTE_PGM_RSRC2:TIDIG_COMP_CNT: 0
	.section	.text._ZN6thrust11hip_rocprim14__parallel_for6kernelILj256ENS0_11__transform17unary_transform_fINS_17counting_iteratorIlNS_11use_defaultES6_S6_EENS_6detail15normal_iteratorINS_10device_ptrIdEEEENS3_14no_stencil_tagEZNS0_6fill_nINS0_5par_tESC_ldEET0_RNS0_16execution_policyIT_EESG_T1_RKT2_EUllE_NS3_21always_true_predicateEEElLj1EEEvSG_SL_SL_,"axG",@progbits,_ZN6thrust11hip_rocprim14__parallel_for6kernelILj256ENS0_11__transform17unary_transform_fINS_17counting_iteratorIlNS_11use_defaultES6_S6_EENS_6detail15normal_iteratorINS_10device_ptrIdEEEENS3_14no_stencil_tagEZNS0_6fill_nINS0_5par_tESC_ldEET0_RNS0_16execution_policyIT_EESG_T1_RKT2_EUllE_NS3_21always_true_predicateEEElLj1EEEvSG_SL_SL_,comdat
	.protected	_ZN6thrust11hip_rocprim14__parallel_for6kernelILj256ENS0_11__transform17unary_transform_fINS_17counting_iteratorIlNS_11use_defaultES6_S6_EENS_6detail15normal_iteratorINS_10device_ptrIdEEEENS3_14no_stencil_tagEZNS0_6fill_nINS0_5par_tESC_ldEET0_RNS0_16execution_policyIT_EESG_T1_RKT2_EUllE_NS3_21always_true_predicateEEElLj1EEEvSG_SL_SL_ ; -- Begin function _ZN6thrust11hip_rocprim14__parallel_for6kernelILj256ENS0_11__transform17unary_transform_fINS_17counting_iteratorIlNS_11use_defaultES6_S6_EENS_6detail15normal_iteratorINS_10device_ptrIdEEEENS3_14no_stencil_tagEZNS0_6fill_nINS0_5par_tESC_ldEET0_RNS0_16execution_policyIT_EESG_T1_RKT2_EUllE_NS3_21always_true_predicateEEElLj1EEEvSG_SL_SL_
	.globl	_ZN6thrust11hip_rocprim14__parallel_for6kernelILj256ENS0_11__transform17unary_transform_fINS_17counting_iteratorIlNS_11use_defaultES6_S6_EENS_6detail15normal_iteratorINS_10device_ptrIdEEEENS3_14no_stencil_tagEZNS0_6fill_nINS0_5par_tESC_ldEET0_RNS0_16execution_policyIT_EESG_T1_RKT2_EUllE_NS3_21always_true_predicateEEElLj1EEEvSG_SL_SL_
	.p2align	8
	.type	_ZN6thrust11hip_rocprim14__parallel_for6kernelILj256ENS0_11__transform17unary_transform_fINS_17counting_iteratorIlNS_11use_defaultES6_S6_EENS_6detail15normal_iteratorINS_10device_ptrIdEEEENS3_14no_stencil_tagEZNS0_6fill_nINS0_5par_tESC_ldEET0_RNS0_16execution_policyIT_EESG_T1_RKT2_EUllE_NS3_21always_true_predicateEEElLj1EEEvSG_SL_SL_,@function
_ZN6thrust11hip_rocprim14__parallel_for6kernelILj256ENS0_11__transform17unary_transform_fINS_17counting_iteratorIlNS_11use_defaultES6_S6_EENS_6detail15normal_iteratorINS_10device_ptrIdEEEENS3_14no_stencil_tagEZNS0_6fill_nINS0_5par_tESC_ldEET0_RNS0_16execution_policyIT_EESG_T1_RKT2_EUllE_NS3_21always_true_predicateEEElLj1EEEvSG_SL_SL_: ; @_ZN6thrust11hip_rocprim14__parallel_for6kernelILj256ENS0_11__transform17unary_transform_fINS_17counting_iteratorIlNS_11use_defaultES6_S6_EENS_6detail15normal_iteratorINS_10device_ptrIdEEEENS3_14no_stencil_tagEZNS0_6fill_nINS0_5par_tESC_ldEET0_RNS0_16execution_policyIT_EESG_T1_RKT2_EUllE_NS3_21always_true_predicateEEElLj1EEEvSG_SL_SL_
; %bb.0:
	s_load_dwordx4 s[8:11], s[4:5], 0x20
	s_lshl_b32 s0, s6, 8
	s_waitcnt lgkmcnt(0)
	s_add_u32 s0, s0, s10
	s_addc_u32 s1, 0, s11
	s_sub_u32 s2, s8, s0
	s_subb_u32 s3, s9, s1
	v_cmp_gt_i64_e64 s3, 0x100, s[2:3]
	s_and_b32 s3, s3, exec_lo
	s_cselect_b32 s2, s2, 0x100
	v_cmp_gt_u32_e32 vcc_lo, s2, v0
	s_cmpk_eq_i32 s2, 0x100
	s_cselect_b32 s2, -1, 0
	s_or_b32 s2, s2, vcc_lo
	s_and_saveexec_b32 s3, s2
	s_cbranch_execz .LBB1_2
; %bb.1:
	s_load_dwordx4 s[4:7], s[4:5], 0x8
	v_lshlrev_b32_e32 v2, 3, v0
	s_lshl_b64 s[0:1], s[0:1], 3
	s_waitcnt lgkmcnt(0)
	s_add_u32 s0, s4, s0
	s_addc_u32 s1, s5, s1
	v_add_co_u32 v2, s0, s0, v2
	v_mov_b32_e32 v0, s6
	v_mov_b32_e32 v1, s7
	v_add_co_ci_u32_e64 v3, null, s1, 0, s0
	flat_store_dwordx2 v[2:3], v[0:1]
.LBB1_2:
	s_endpgm
	.section	.rodata,"a",@progbits
	.p2align	6, 0x0
	.amdhsa_kernel _ZN6thrust11hip_rocprim14__parallel_for6kernelILj256ENS0_11__transform17unary_transform_fINS_17counting_iteratorIlNS_11use_defaultES6_S6_EENS_6detail15normal_iteratorINS_10device_ptrIdEEEENS3_14no_stencil_tagEZNS0_6fill_nINS0_5par_tESC_ldEET0_RNS0_16execution_policyIT_EESG_T1_RKT2_EUllE_NS3_21always_true_predicateEEElLj1EEEvSG_SL_SL_
		.amdhsa_group_segment_fixed_size 0
		.amdhsa_private_segment_fixed_size 0
		.amdhsa_kernarg_size 48
		.amdhsa_user_sgpr_count 6
		.amdhsa_user_sgpr_private_segment_buffer 1
		.amdhsa_user_sgpr_dispatch_ptr 0
		.amdhsa_user_sgpr_queue_ptr 0
		.amdhsa_user_sgpr_kernarg_segment_ptr 1
		.amdhsa_user_sgpr_dispatch_id 0
		.amdhsa_user_sgpr_flat_scratch_init 0
		.amdhsa_user_sgpr_private_segment_size 0
		.amdhsa_wavefront_size32 1
		.amdhsa_uses_dynamic_stack 0
		.amdhsa_system_sgpr_private_segment_wavefront_offset 0
		.amdhsa_system_sgpr_workgroup_id_x 1
		.amdhsa_system_sgpr_workgroup_id_y 0
		.amdhsa_system_sgpr_workgroup_id_z 0
		.amdhsa_system_sgpr_workgroup_info 0
		.amdhsa_system_vgpr_workitem_id 0
		.amdhsa_next_free_vgpr 4
		.amdhsa_next_free_sgpr 12
		.amdhsa_reserve_vcc 1
		.amdhsa_reserve_flat_scratch 0
		.amdhsa_float_round_mode_32 0
		.amdhsa_float_round_mode_16_64 0
		.amdhsa_float_denorm_mode_32 3
		.amdhsa_float_denorm_mode_16_64 3
		.amdhsa_dx10_clamp 1
		.amdhsa_ieee_mode 1
		.amdhsa_fp16_overflow 0
		.amdhsa_workgroup_processor_mode 1
		.amdhsa_memory_ordered 1
		.amdhsa_forward_progress 0
		.amdhsa_shared_vgpr_count 0
		.amdhsa_exception_fp_ieee_invalid_op 0
		.amdhsa_exception_fp_denorm_src 0
		.amdhsa_exception_fp_ieee_div_zero 0
		.amdhsa_exception_fp_ieee_overflow 0
		.amdhsa_exception_fp_ieee_underflow 0
		.amdhsa_exception_fp_ieee_inexact 0
		.amdhsa_exception_int_div_zero 0
	.end_amdhsa_kernel
	.section	.text._ZN6thrust11hip_rocprim14__parallel_for6kernelILj256ENS0_11__transform17unary_transform_fINS_17counting_iteratorIlNS_11use_defaultES6_S6_EENS_6detail15normal_iteratorINS_10device_ptrIdEEEENS3_14no_stencil_tagEZNS0_6fill_nINS0_5par_tESC_ldEET0_RNS0_16execution_policyIT_EESG_T1_RKT2_EUllE_NS3_21always_true_predicateEEElLj1EEEvSG_SL_SL_,"axG",@progbits,_ZN6thrust11hip_rocprim14__parallel_for6kernelILj256ENS0_11__transform17unary_transform_fINS_17counting_iteratorIlNS_11use_defaultES6_S6_EENS_6detail15normal_iteratorINS_10device_ptrIdEEEENS3_14no_stencil_tagEZNS0_6fill_nINS0_5par_tESC_ldEET0_RNS0_16execution_policyIT_EESG_T1_RKT2_EUllE_NS3_21always_true_predicateEEElLj1EEEvSG_SL_SL_,comdat
.Lfunc_end1:
	.size	_ZN6thrust11hip_rocprim14__parallel_for6kernelILj256ENS0_11__transform17unary_transform_fINS_17counting_iteratorIlNS_11use_defaultES6_S6_EENS_6detail15normal_iteratorINS_10device_ptrIdEEEENS3_14no_stencil_tagEZNS0_6fill_nINS0_5par_tESC_ldEET0_RNS0_16execution_policyIT_EESG_T1_RKT2_EUllE_NS3_21always_true_predicateEEElLj1EEEvSG_SL_SL_, .Lfunc_end1-_ZN6thrust11hip_rocprim14__parallel_for6kernelILj256ENS0_11__transform17unary_transform_fINS_17counting_iteratorIlNS_11use_defaultES6_S6_EENS_6detail15normal_iteratorINS_10device_ptrIdEEEENS3_14no_stencil_tagEZNS0_6fill_nINS0_5par_tESC_ldEET0_RNS0_16execution_policyIT_EESG_T1_RKT2_EUllE_NS3_21always_true_predicateEEElLj1EEEvSG_SL_SL_
                                        ; -- End function
	.section	.AMDGPU.csdata,"",@progbits
; Kernel info:
; codeLenInByte = 144
; NumSgprs: 14
; NumVgprs: 4
; ScratchSize: 0
; MemoryBound: 0
; FloatMode: 240
; IeeeMode: 1
; LDSByteSize: 0 bytes/workgroup (compile time only)
; SGPRBlocks: 1
; VGPRBlocks: 0
; NumSGPRsForWavesPerEU: 14
; NumVGPRsForWavesPerEU: 4
; Occupancy: 16
; WaveLimiterHint : 0
; COMPUTE_PGM_RSRC2:SCRATCH_EN: 0
; COMPUTE_PGM_RSRC2:USER_SGPR: 6
; COMPUTE_PGM_RSRC2:TRAP_HANDLER: 0
; COMPUTE_PGM_RSRC2:TGID_X_EN: 1
; COMPUTE_PGM_RSRC2:TGID_Y_EN: 0
; COMPUTE_PGM_RSRC2:TGID_Z_EN: 0
; COMPUTE_PGM_RSRC2:TIDIG_COMP_CNT: 0
	.section	.text._ZN6thrust11hip_rocprim14__parallel_for6kernelILj256ENS0_10for_each_fINS_12zip_iteratorINS_5tupleINS_6detail15normal_iteratorINS_10device_ptrIdEEEESA_SA_NS_9null_typeESB_SB_SB_SB_SB_SB_EEEENS6_16wrapped_functionIZ4mainEUlNS5_IRdddSB_SB_SB_SB_SB_SB_SB_EEE_vEEEElLj1EEEvT0_T1_SL_,"axG",@progbits,_ZN6thrust11hip_rocprim14__parallel_for6kernelILj256ENS0_10for_each_fINS_12zip_iteratorINS_5tupleINS_6detail15normal_iteratorINS_10device_ptrIdEEEESA_SA_NS_9null_typeESB_SB_SB_SB_SB_SB_EEEENS6_16wrapped_functionIZ4mainEUlNS5_IRdddSB_SB_SB_SB_SB_SB_SB_EEE_vEEEElLj1EEEvT0_T1_SL_,comdat
	.globl	_ZN6thrust11hip_rocprim14__parallel_for6kernelILj256ENS0_10for_each_fINS_12zip_iteratorINS_5tupleINS_6detail15normal_iteratorINS_10device_ptrIdEEEESA_SA_NS_9null_typeESB_SB_SB_SB_SB_SB_EEEENS6_16wrapped_functionIZ4mainEUlNS5_IRdddSB_SB_SB_SB_SB_SB_SB_EEE_vEEEElLj1EEEvT0_T1_SL_ ; -- Begin function _ZN6thrust11hip_rocprim14__parallel_for6kernelILj256ENS0_10for_each_fINS_12zip_iteratorINS_5tupleINS_6detail15normal_iteratorINS_10device_ptrIdEEEESA_SA_NS_9null_typeESB_SB_SB_SB_SB_SB_EEEENS6_16wrapped_functionIZ4mainEUlNS5_IRdddSB_SB_SB_SB_SB_SB_SB_EEE_vEEEElLj1EEEvT0_T1_SL_
	.p2align	8
	.type	_ZN6thrust11hip_rocprim14__parallel_for6kernelILj256ENS0_10for_each_fINS_12zip_iteratorINS_5tupleINS_6detail15normal_iteratorINS_10device_ptrIdEEEESA_SA_NS_9null_typeESB_SB_SB_SB_SB_SB_EEEENS6_16wrapped_functionIZ4mainEUlNS5_IRdddSB_SB_SB_SB_SB_SB_SB_EEE_vEEEElLj1EEEvT0_T1_SL_,@function
_ZN6thrust11hip_rocprim14__parallel_for6kernelILj256ENS0_10for_each_fINS_12zip_iteratorINS_5tupleINS_6detail15normal_iteratorINS_10device_ptrIdEEEESA_SA_NS_9null_typeESB_SB_SB_SB_SB_SB_EEEENS6_16wrapped_functionIZ4mainEUlNS5_IRdddSB_SB_SB_SB_SB_SB_SB_EEE_vEEEElLj1EEEvT0_T1_SL_: ; @_ZN6thrust11hip_rocprim14__parallel_for6kernelILj256ENS0_10for_each_fINS_12zip_iteratorINS_5tupleINS_6detail15normal_iteratorINS_10device_ptrIdEEEESA_SA_NS_9null_typeESB_SB_SB_SB_SB_SB_EEEENS6_16wrapped_functionIZ4mainEUlNS5_IRdddSB_SB_SB_SB_SB_SB_SB_EEE_vEEEElLj1EEEvT0_T1_SL_
; %bb.0:
	s_load_dwordx4 s[8:11], s[4:5], 0x20
	s_lshl_b32 s0, s6, 8
	s_waitcnt lgkmcnt(0)
	s_add_u32 s0, s0, s10
	s_addc_u32 s1, 0, s11
	s_sub_u32 s2, s8, s0
	s_subb_u32 s3, s9, s1
	v_cmp_gt_i64_e64 s3, 0x100, s[2:3]
	s_and_b32 s3, s3, exec_lo
	s_cselect_b32 s2, s2, 0x100
	v_cmp_gt_u32_e32 vcc_lo, s2, v0
	s_cmpk_eq_i32 s2, 0x100
	s_cselect_b32 s2, -1, 0
	s_or_b32 s2, s2, vcc_lo
	s_and_saveexec_b32 s3, s2
	s_cbranch_execz .LBB2_2
; %bb.1:
	s_load_dwordx8 s[4:11], s[4:5], 0x0
	v_add_co_u32 v0, s0, s0, v0
	v_add_co_ci_u32_e64 v1, null, s1, 0, s0
	v_lshlrev_b64 v[0:1], 3, v[0:1]
	s_waitcnt lgkmcnt(0)
	v_add_co_u32 v2, vcc_lo, s6, v0
	v_add_co_ci_u32_e32 v3, vcc_lo, s7, v1, vcc_lo
	v_add_co_u32 v4, vcc_lo, s8, v0
	v_add_co_ci_u32_e32 v5, vcc_lo, s9, v1, vcc_lo
	v_add_co_u32 v0, vcc_lo, s4, v0
	global_load_dwordx2 v[2:3], v[2:3], off
	global_load_dwordx2 v[4:5], v[4:5], off
	v_add_co_ci_u32_e32 v1, vcc_lo, s5, v1, vcc_lo
	global_load_dwordx2 v[6:7], v[0:1], off
	s_waitcnt vmcnt(1)
	v_fma_f64 v[2:3], s[10:11], v[4:5], v[2:3]
	s_waitcnt vmcnt(0)
	v_add_f64 v[2:3], v[6:7], v[2:3]
	global_store_dwordx2 v[0:1], v[2:3], off
.LBB2_2:
	s_endpgm
	.section	.rodata,"a",@progbits
	.p2align	6, 0x0
	.amdhsa_kernel _ZN6thrust11hip_rocprim14__parallel_for6kernelILj256ENS0_10for_each_fINS_12zip_iteratorINS_5tupleINS_6detail15normal_iteratorINS_10device_ptrIdEEEESA_SA_NS_9null_typeESB_SB_SB_SB_SB_SB_EEEENS6_16wrapped_functionIZ4mainEUlNS5_IRdddSB_SB_SB_SB_SB_SB_SB_EEE_vEEEElLj1EEEvT0_T1_SL_
		.amdhsa_group_segment_fixed_size 0
		.amdhsa_private_segment_fixed_size 0
		.amdhsa_kernarg_size 48
		.amdhsa_user_sgpr_count 6
		.amdhsa_user_sgpr_private_segment_buffer 1
		.amdhsa_user_sgpr_dispatch_ptr 0
		.amdhsa_user_sgpr_queue_ptr 0
		.amdhsa_user_sgpr_kernarg_segment_ptr 1
		.amdhsa_user_sgpr_dispatch_id 0
		.amdhsa_user_sgpr_flat_scratch_init 0
		.amdhsa_user_sgpr_private_segment_size 0
		.amdhsa_wavefront_size32 1
		.amdhsa_uses_dynamic_stack 0
		.amdhsa_system_sgpr_private_segment_wavefront_offset 0
		.amdhsa_system_sgpr_workgroup_id_x 1
		.amdhsa_system_sgpr_workgroup_id_y 0
		.amdhsa_system_sgpr_workgroup_id_z 0
		.amdhsa_system_sgpr_workgroup_info 0
		.amdhsa_system_vgpr_workitem_id 0
		.amdhsa_next_free_vgpr 8
		.amdhsa_next_free_sgpr 12
		.amdhsa_reserve_vcc 1
		.amdhsa_reserve_flat_scratch 0
		.amdhsa_float_round_mode_32 0
		.amdhsa_float_round_mode_16_64 0
		.amdhsa_float_denorm_mode_32 3
		.amdhsa_float_denorm_mode_16_64 3
		.amdhsa_dx10_clamp 1
		.amdhsa_ieee_mode 1
		.amdhsa_fp16_overflow 0
		.amdhsa_workgroup_processor_mode 1
		.amdhsa_memory_ordered 1
		.amdhsa_forward_progress 0
		.amdhsa_shared_vgpr_count 0
		.amdhsa_exception_fp_ieee_invalid_op 0
		.amdhsa_exception_fp_denorm_src 0
		.amdhsa_exception_fp_ieee_div_zero 0
		.amdhsa_exception_fp_ieee_overflow 0
		.amdhsa_exception_fp_ieee_underflow 0
		.amdhsa_exception_fp_ieee_inexact 0
		.amdhsa_exception_int_div_zero 0
	.end_amdhsa_kernel
	.section	.text._ZN6thrust11hip_rocprim14__parallel_for6kernelILj256ENS0_10for_each_fINS_12zip_iteratorINS_5tupleINS_6detail15normal_iteratorINS_10device_ptrIdEEEESA_SA_NS_9null_typeESB_SB_SB_SB_SB_SB_EEEENS6_16wrapped_functionIZ4mainEUlNS5_IRdddSB_SB_SB_SB_SB_SB_SB_EEE_vEEEElLj1EEEvT0_T1_SL_,"axG",@progbits,_ZN6thrust11hip_rocprim14__parallel_for6kernelILj256ENS0_10for_each_fINS_12zip_iteratorINS_5tupleINS_6detail15normal_iteratorINS_10device_ptrIdEEEESA_SA_NS_9null_typeESB_SB_SB_SB_SB_SB_EEEENS6_16wrapped_functionIZ4mainEUlNS5_IRdddSB_SB_SB_SB_SB_SB_SB_EEE_vEEEElLj1EEEvT0_T1_SL_,comdat
.Lfunc_end2:
	.size	_ZN6thrust11hip_rocprim14__parallel_for6kernelILj256ENS0_10for_each_fINS_12zip_iteratorINS_5tupleINS_6detail15normal_iteratorINS_10device_ptrIdEEEESA_SA_NS_9null_typeESB_SB_SB_SB_SB_SB_EEEENS6_16wrapped_functionIZ4mainEUlNS5_IRdddSB_SB_SB_SB_SB_SB_SB_EEE_vEEEElLj1EEEvT0_T1_SL_, .Lfunc_end2-_ZN6thrust11hip_rocprim14__parallel_for6kernelILj256ENS0_10for_each_fINS_12zip_iteratorINS_5tupleINS_6detail15normal_iteratorINS_10device_ptrIdEEEESA_SA_NS_9null_typeESB_SB_SB_SB_SB_SB_EEEENS6_16wrapped_functionIZ4mainEUlNS5_IRdddSB_SB_SB_SB_SB_SB_SB_EEE_vEEEElLj1EEEvT0_T1_SL_
                                        ; -- End function
	.section	.AMDGPU.csdata,"",@progbits
; Kernel info:
; codeLenInByte = 212
; NumSgprs: 14
; NumVgprs: 8
; ScratchSize: 0
; MemoryBound: 0
; FloatMode: 240
; IeeeMode: 1
; LDSByteSize: 0 bytes/workgroup (compile time only)
; SGPRBlocks: 1
; VGPRBlocks: 0
; NumSGPRsForWavesPerEU: 14
; NumVGPRsForWavesPerEU: 8
; Occupancy: 16
; WaveLimiterHint : 0
; COMPUTE_PGM_RSRC2:SCRATCH_EN: 0
; COMPUTE_PGM_RSRC2:USER_SGPR: 6
; COMPUTE_PGM_RSRC2:TRAP_HANDLER: 0
; COMPUTE_PGM_RSRC2:TGID_X_EN: 1
; COMPUTE_PGM_RSRC2:TGID_Y_EN: 0
; COMPUTE_PGM_RSRC2:TGID_Z_EN: 0
; COMPUTE_PGM_RSRC2:TIDIG_COMP_CNT: 0
	.section	.text._ZN7rocprim6detail19block_reduce_kernelILb0ELb1ELj1ENS0_21wrapped_reduce_configINS_14default_configEdEEdPdS5_dN6thrust4plusIdEEEEvT4_mT5_T6_T7_,"axG",@progbits,_ZN7rocprim6detail19block_reduce_kernelILb0ELb1ELj1ENS0_21wrapped_reduce_configINS_14default_configEdEEdPdS5_dN6thrust4plusIdEEEEvT4_mT5_T6_T7_,comdat
	.protected	_ZN7rocprim6detail19block_reduce_kernelILb0ELb1ELj1ENS0_21wrapped_reduce_configINS_14default_configEdEEdPdS5_dN6thrust4plusIdEEEEvT4_mT5_T6_T7_ ; -- Begin function _ZN7rocprim6detail19block_reduce_kernelILb0ELb1ELj1ENS0_21wrapped_reduce_configINS_14default_configEdEEdPdS5_dN6thrust4plusIdEEEEvT4_mT5_T6_T7_
	.globl	_ZN7rocprim6detail19block_reduce_kernelILb0ELb1ELj1ENS0_21wrapped_reduce_configINS_14default_configEdEEdPdS5_dN6thrust4plusIdEEEEvT4_mT5_T6_T7_
	.p2align	8
	.type	_ZN7rocprim6detail19block_reduce_kernelILb0ELb1ELj1ENS0_21wrapped_reduce_configINS_14default_configEdEEdPdS5_dN6thrust4plusIdEEEEvT4_mT5_T6_T7_,@function
_ZN7rocprim6detail19block_reduce_kernelILb0ELb1ELj1ENS0_21wrapped_reduce_configINS_14default_configEdEEdPdS5_dN6thrust4plusIdEEEEvT4_mT5_T6_T7_: ; @_ZN7rocprim6detail19block_reduce_kernelILb0ELb1ELj1ENS0_21wrapped_reduce_configINS_14default_configEdEEdPdS5_dN6thrust4plusIdEEEEvT4_mT5_T6_T7_
; %bb.0:
	s_load_dwordx8 s[8:15], s[4:5], 0x0
	s_mov_b32 s1, 0
	s_lshl_b32 s0, s6, 11
	v_lshlrev_b32_e32 v1, 3, v0
	s_lshl_b64 s[2:3], s[0:1], 3
	s_mov_b32 s7, s1
	v_mbcnt_lo_u32_b32 v19, -1, 0
	s_waitcnt lgkmcnt(0)
	s_lshr_b64 s[4:5], s[10:11], 11
	s_add_u32 s1, s8, s2
	s_addc_u32 s2, s9, s3
	v_add_co_u32 v17, s1, s1, v1
	v_add_co_ci_u32_e64 v18, null, s2, 0, s1
	s_cmp_lg_u64 s[4:5], s[6:7]
	s_cbranch_scc0 .LBB3_6
; %bb.1:
	v_add_co_u32 v1, vcc_lo, v17, 0x1000
	v_add_co_ci_u32_e32 v2, vcc_lo, 0, v18, vcc_lo
	v_add_co_u32 v7, vcc_lo, v17, 0x2000
	s_clause 0x2
	global_load_dwordx2 v[3:4], v[17:18], off
	global_load_dwordx2 v[5:6], v[1:2], off offset:-2048
	global_load_dwordx2 v[1:2], v[1:2], off
	v_add_co_ci_u32_e32 v8, vcc_lo, 0, v18, vcc_lo
	v_add_co_u32 v11, vcc_lo, v17, 0x3000
	s_clause 0x1
	global_load_dwordx2 v[9:10], v[7:8], off offset:-2048
	global_load_dwordx2 v[7:8], v[7:8], off
	v_add_co_ci_u32_e32 v12, vcc_lo, 0, v18, vcc_lo
	s_clause 0x1
	global_load_dwordx2 v[13:14], v[11:12], off offset:-2048
	global_load_dwordx2 v[11:12], v[11:12], off
	v_add_co_u32 v15, vcc_lo, 0x3800, v17
	v_add_co_ci_u32_e32 v16, vcc_lo, 0, v18, vcc_lo
	s_mov_b32 s1, exec_lo
	global_load_dwordx2 v[15:16], v[15:16], off
	s_waitcnt vmcnt(6)
	v_add_f64 v[3:4], v[3:4], v[5:6]
	s_waitcnt vmcnt(5)
	v_add_f64 v[1:2], v[3:4], v[1:2]
	;; [unrolled: 2-line block ×7, first 2 shown]
	v_mov_b32_dpp v3, v1 quad_perm:[1,0,3,2] row_mask:0xf bank_mask:0xf
	v_mov_b32_dpp v4, v2 quad_perm:[1,0,3,2] row_mask:0xf bank_mask:0xf
	v_add_f64 v[1:2], v[1:2], v[3:4]
	v_mov_b32_dpp v3, v1 quad_perm:[2,3,0,1] row_mask:0xf bank_mask:0xf
	v_mov_b32_dpp v4, v2 quad_perm:[2,3,0,1] row_mask:0xf bank_mask:0xf
	v_add_f64 v[1:2], v[1:2], v[3:4]
	v_mov_b32_dpp v3, v1 row_ror:4 row_mask:0xf bank_mask:0xf
	v_mov_b32_dpp v4, v2 row_ror:4 row_mask:0xf bank_mask:0xf
	v_add_f64 v[1:2], v[1:2], v[3:4]
	v_mov_b32_dpp v3, v1 row_ror:8 row_mask:0xf bank_mask:0xf
	v_mov_b32_dpp v4, v2 row_ror:8 row_mask:0xf bank_mask:0xf
	v_add_f64 v[1:2], v[1:2], v[3:4]
	ds_swizzle_b32 v3, v1 offset:swizzle(BROADCAST,32,15)
	ds_swizzle_b32 v4, v2 offset:swizzle(BROADCAST,32,15)
	s_waitcnt lgkmcnt(0)
	v_add_f64 v[1:2], v[1:2], v[3:4]
	v_mov_b32_e32 v3, 0
	ds_bpermute_b32 v1, v3, v1 offset:124
	ds_bpermute_b32 v2, v3, v2 offset:124
	v_cmpx_eq_u32_e32 0, v19
	s_cbranch_execz .LBB3_3
; %bb.2:
	v_lshrrev_b32_e32 v3, 2, v0
	v_and_b32_e32 v3, 56, v3
	s_waitcnt lgkmcnt(0)
	ds_write_b64 v3, v[1:2]
.LBB3_3:
	s_or_b32 exec_lo, exec_lo, s1
	s_mov_b32 s1, exec_lo
	s_waitcnt lgkmcnt(0)
	s_barrier
	buffer_gl0_inv
	v_cmpx_gt_u32_e32 32, v0
	s_cbranch_execz .LBB3_5
; %bb.4:
	v_and_b32_e32 v5, 7, v19
	v_lshlrev_b32_e32 v1, 3, v5
	v_cmp_ne_u32_e32 vcc_lo, 7, v5
	ds_read_b64 v[1:2], v1
	v_add_co_ci_u32_e32 v3, vcc_lo, 0, v19, vcc_lo
	v_cmp_gt_u32_e32 vcc_lo, 6, v5
	v_lshlrev_b32_e32 v4, 2, v3
	s_waitcnt lgkmcnt(0)
	ds_bpermute_b32 v3, v4, v1
	ds_bpermute_b32 v4, v4, v2
	s_waitcnt lgkmcnt(0)
	v_add_f64 v[1:2], v[1:2], v[3:4]
	v_cndmask_b32_e64 v3, 0, 1, vcc_lo
	v_cmp_gt_u32_e32 vcc_lo, 4, v5
	v_lshlrev_b32_e32 v3, 1, v3
	v_add_lshl_u32 v4, v3, v19, 2
	ds_bpermute_b32 v3, v4, v1
	ds_bpermute_b32 v4, v4, v2
	s_waitcnt lgkmcnt(0)
	v_add_f64 v[1:2], v[1:2], v[3:4]
	v_cndmask_b32_e64 v3, 0, 1, vcc_lo
	v_lshlrev_b32_e32 v3, 2, v3
	v_add_lshl_u32 v4, v3, v19, 2
	ds_bpermute_b32 v3, v4, v1
	ds_bpermute_b32 v4, v4, v2
	s_waitcnt lgkmcnt(0)
	v_add_f64 v[1:2], v[1:2], v[3:4]
.LBB3_5:
	s_or_b32 exec_lo, exec_lo, s1
	s_branch .LBB3_44
.LBB3_6:
                                        ; implicit-def: $vgpr1_vgpr2
	s_cbranch_execz .LBB3_44
; %bb.7:
	s_sub_i32 s9, s10, s0
	s_mov_b32 s0, exec_lo
                                        ; implicit-def: $vgpr1_vgpr2_vgpr3_vgpr4_vgpr5_vgpr6_vgpr7_vgpr8_vgpr9_vgpr10_vgpr11_vgpr12_vgpr13_vgpr14_vgpr15_vgpr16
	v_cmpx_gt_u32_e64 s9, v0
	s_cbranch_execz .LBB3_9
; %bb.8:
	global_load_dwordx2 v[1:2], v[17:18], off
.LBB3_9:
	s_or_b32 exec_lo, exec_lo, s0
	v_or_b32_e32 v20, 0x100, v0
	v_cmp_gt_u32_e32 vcc_lo, s9, v20
	s_and_saveexec_b32 s1, vcc_lo
	s_cbranch_execz .LBB3_11
; %bb.10:
	v_add_co_u32 v3, s0, 0x800, v17
	v_add_co_ci_u32_e64 v4, s0, 0, v18, s0
	global_load_dwordx2 v[3:4], v[3:4], off
.LBB3_11:
	s_or_b32 exec_lo, exec_lo, s1
	v_or_b32_e32 v20, 0x200, v0
	v_cmp_gt_u32_e64 s0, s9, v20
	s_and_saveexec_b32 s2, s0
	s_cbranch_execz .LBB3_13
; %bb.12:
	v_add_co_u32 v5, s1, 0x1000, v17
	v_add_co_ci_u32_e64 v6, s1, 0, v18, s1
	global_load_dwordx2 v[5:6], v[5:6], off
.LBB3_13:
	s_or_b32 exec_lo, exec_lo, s2
	v_or_b32_e32 v20, 0x300, v0
	v_cmp_gt_u32_e64 s1, s9, v20
	s_and_saveexec_b32 s3, s1
	;; [unrolled: 10-line block ×6, first 2 shown]
	s_cbranch_execz .LBB3_23
; %bb.22:
	v_add_co_u32 v15, s8, 0x3800, v17
	v_add_co_ci_u32_e64 v16, s8, 0, v18, s8
	global_load_dwordx2 v[15:16], v[15:16], off
.LBB3_23:
	s_or_b32 exec_lo, exec_lo, s16
	s_waitcnt vmcnt(0)
	v_add_f64 v[3:4], v[1:2], v[3:4]
	v_cndmask_b32_e32 v2, v2, v4, vcc_lo
	v_cndmask_b32_e32 v1, v1, v3, vcc_lo
	v_cmp_ne_u32_e32 vcc_lo, 31, v19
	v_add_f64 v[3:4], v[5:6], v[1:2]
	v_add_co_ci_u32_e32 v5, vcc_lo, 0, v19, vcc_lo
	v_add_nc_u32_e32 v6, 1, v19
	v_lshlrev_b32_e32 v5, 2, v5
	v_cndmask_b32_e64 v2, v2, v4, s0
	v_cndmask_b32_e64 v1, v1, v3, s0
	s_min_u32 s0, s9, 0x100
	v_add_f64 v[3:4], v[7:8], v[1:2]
	v_cndmask_b32_e64 v2, v2, v4, s1
	v_cndmask_b32_e64 v1, v1, v3, s1
	s_mov_b32 s1, exec_lo
	v_add_f64 v[3:4], v[9:10], v[1:2]
	v_cndmask_b32_e64 v2, v2, v4, s2
	v_cndmask_b32_e64 v1, v1, v3, s2
	v_add_f64 v[3:4], v[11:12], v[1:2]
	v_cndmask_b32_e64 v2, v2, v4, s3
	v_cndmask_b32_e64 v1, v1, v3, s3
	;; [unrolled: 3-line block ×4, first 2 shown]
	ds_bpermute_b32 v3, v5, v1
	ds_bpermute_b32 v4, v5, v2
	v_and_b32_e32 v5, 0xe0, v0
	v_sub_nc_u32_e64 v5, s0, v5 clamp
	v_cmpx_lt_u32_e64 v6, v5
	s_cbranch_execz .LBB3_25
; %bb.24:
	s_waitcnt lgkmcnt(0)
	v_add_f64 v[1:2], v[1:2], v[3:4]
.LBB3_25:
	s_or_b32 exec_lo, exec_lo, s1
	v_cmp_gt_u32_e32 vcc_lo, 30, v19
	v_add_nc_u32_e32 v6, 2, v19
	s_mov_b32 s1, exec_lo
	s_waitcnt lgkmcnt(1)
	v_cndmask_b32_e64 v3, 0, 1, vcc_lo
	v_lshlrev_b32_e32 v3, 1, v3
	s_waitcnt lgkmcnt(0)
	v_add_lshl_u32 v4, v3, v19, 2
	ds_bpermute_b32 v3, v4, v1
	ds_bpermute_b32 v4, v4, v2
	v_cmpx_lt_u32_e64 v6, v5
	s_cbranch_execz .LBB3_27
; %bb.26:
	s_waitcnt lgkmcnt(0)
	v_add_f64 v[1:2], v[1:2], v[3:4]
.LBB3_27:
	s_or_b32 exec_lo, exec_lo, s1
	v_cmp_gt_u32_e32 vcc_lo, 28, v19
	v_add_nc_u32_e32 v6, 4, v19
	s_mov_b32 s1, exec_lo
	s_waitcnt lgkmcnt(1)
	v_cndmask_b32_e64 v3, 0, 1, vcc_lo
	v_lshlrev_b32_e32 v3, 2, v3
	s_waitcnt lgkmcnt(0)
	v_add_lshl_u32 v4, v3, v19, 2
	ds_bpermute_b32 v3, v4, v1
	ds_bpermute_b32 v4, v4, v2
	;; [unrolled: 17-line block ×4, first 2 shown]
	v_cmpx_lt_u32_e64 v6, v5
	s_cbranch_execz .LBB3_33
; %bb.32:
	s_waitcnt lgkmcnt(0)
	v_add_f64 v[1:2], v[1:2], v[3:4]
.LBB3_33:
	s_or_b32 exec_lo, exec_lo, s1
	s_mov_b32 s1, exec_lo
	v_cmpx_eq_u32_e32 0, v19
	s_cbranch_execz .LBB3_35
; %bb.34:
	s_waitcnt lgkmcnt(1)
	v_lshrrev_b32_e32 v3, 2, v0
	v_and_b32_e32 v3, 56, v3
	ds_write_b64 v3, v[1:2] offset:64
.LBB3_35:
	s_or_b32 exec_lo, exec_lo, s1
	s_mov_b32 s1, exec_lo
	s_waitcnt lgkmcnt(0)
	s_barrier
	buffer_gl0_inv
	v_cmpx_gt_u32_e32 8, v0
	s_cbranch_execz .LBB3_43
; %bb.36:
	v_lshlrev_b32_e32 v1, 3, v19
	v_and_b32_e32 v5, 7, v19
	s_add_i32 s0, s0, 31
	s_mov_b32 s2, exec_lo
	s_lshr_b32 s0, s0, 5
	ds_read_b64 v[1:2], v1 offset:64
	v_cmp_ne_u32_e32 vcc_lo, 7, v5
	v_add_nc_u32_e32 v6, 1, v5
	v_add_co_ci_u32_e32 v3, vcc_lo, 0, v19, vcc_lo
	v_lshlrev_b32_e32 v4, 2, v3
	s_waitcnt lgkmcnt(0)
	ds_bpermute_b32 v3, v4, v1
	ds_bpermute_b32 v4, v4, v2
	v_cmpx_gt_u32_e64 s0, v6
	s_cbranch_execz .LBB3_38
; %bb.37:
	s_waitcnt lgkmcnt(0)
	v_add_f64 v[1:2], v[1:2], v[3:4]
.LBB3_38:
	s_or_b32 exec_lo, exec_lo, s2
	v_cmp_gt_u32_e32 vcc_lo, 6, v5
	v_add_nc_u32_e32 v6, 2, v5
	s_mov_b32 s2, exec_lo
	s_waitcnt lgkmcnt(1)
	v_cndmask_b32_e64 v3, 0, 1, vcc_lo
	v_lshlrev_b32_e32 v3, 1, v3
	s_waitcnt lgkmcnt(0)
	v_add_lshl_u32 v4, v3, v19, 2
	ds_bpermute_b32 v3, v4, v1
	ds_bpermute_b32 v4, v4, v2
	v_cmpx_gt_u32_e64 s0, v6
	s_cbranch_execz .LBB3_40
; %bb.39:
	s_waitcnt lgkmcnt(0)
	v_add_f64 v[1:2], v[1:2], v[3:4]
.LBB3_40:
	s_or_b32 exec_lo, exec_lo, s2
	v_cmp_gt_u32_e32 vcc_lo, 4, v5
	v_add_nc_u32_e32 v5, 4, v5
	s_waitcnt lgkmcnt(1)
	v_cndmask_b32_e64 v3, 0, 1, vcc_lo
	v_cmp_gt_u32_e32 vcc_lo, s0, v5
	v_lshlrev_b32_e32 v3, 2, v3
	s_waitcnt lgkmcnt(0)
	v_add_lshl_u32 v4, v3, v19, 2
	ds_bpermute_b32 v3, v4, v1
	ds_bpermute_b32 v4, v4, v2
	s_and_saveexec_b32 s0, vcc_lo
	s_cbranch_execz .LBB3_42
; %bb.41:
	s_waitcnt lgkmcnt(0)
	v_add_f64 v[1:2], v[1:2], v[3:4]
.LBB3_42:
	s_or_b32 exec_lo, exec_lo, s0
.LBB3_43:
	s_or_b32 exec_lo, exec_lo, s1
.LBB3_44:
	s_mov_b32 s0, exec_lo
	v_cmpx_eq_u32_e32 0, v0
	s_cbranch_execz .LBB3_46
; %bb.45:
	s_lshl_b64 s[0:1], s[6:7], 3
	v_mov_b32_e32 v0, 0
	s_add_u32 s0, s12, s0
	s_addc_u32 s1, s13, s1
	s_cmp_eq_u64 s[10:11], 0
	s_cselect_b32 s2, -1, 0
	v_cndmask_b32_e64 v2, v2, s15, s2
	v_cndmask_b32_e64 v1, v1, s14, s2
	global_store_dwordx2 v0, v[1:2], s[0:1]
.LBB3_46:
	s_endpgm
	.section	.rodata,"a",@progbits
	.p2align	6, 0x0
	.amdhsa_kernel _ZN7rocprim6detail19block_reduce_kernelILb0ELb1ELj1ENS0_21wrapped_reduce_configINS_14default_configEdEEdPdS5_dN6thrust4plusIdEEEEvT4_mT5_T6_T7_
		.amdhsa_group_segment_fixed_size 128
		.amdhsa_private_segment_fixed_size 0
		.amdhsa_kernarg_size 36
		.amdhsa_user_sgpr_count 6
		.amdhsa_user_sgpr_private_segment_buffer 1
		.amdhsa_user_sgpr_dispatch_ptr 0
		.amdhsa_user_sgpr_queue_ptr 0
		.amdhsa_user_sgpr_kernarg_segment_ptr 1
		.amdhsa_user_sgpr_dispatch_id 0
		.amdhsa_user_sgpr_flat_scratch_init 0
		.amdhsa_user_sgpr_private_segment_size 0
		.amdhsa_wavefront_size32 1
		.amdhsa_uses_dynamic_stack 0
		.amdhsa_system_sgpr_private_segment_wavefront_offset 0
		.amdhsa_system_sgpr_workgroup_id_x 1
		.amdhsa_system_sgpr_workgroup_id_y 0
		.amdhsa_system_sgpr_workgroup_id_z 0
		.amdhsa_system_sgpr_workgroup_info 0
		.amdhsa_system_vgpr_workitem_id 0
		.amdhsa_next_free_vgpr 21
		.amdhsa_next_free_sgpr 17
		.amdhsa_reserve_vcc 1
		.amdhsa_reserve_flat_scratch 0
		.amdhsa_float_round_mode_32 0
		.amdhsa_float_round_mode_16_64 0
		.amdhsa_float_denorm_mode_32 3
		.amdhsa_float_denorm_mode_16_64 3
		.amdhsa_dx10_clamp 1
		.amdhsa_ieee_mode 1
		.amdhsa_fp16_overflow 0
		.amdhsa_workgroup_processor_mode 1
		.amdhsa_memory_ordered 1
		.amdhsa_forward_progress 0
		.amdhsa_shared_vgpr_count 0
		.amdhsa_exception_fp_ieee_invalid_op 0
		.amdhsa_exception_fp_denorm_src 0
		.amdhsa_exception_fp_ieee_div_zero 0
		.amdhsa_exception_fp_ieee_overflow 0
		.amdhsa_exception_fp_ieee_underflow 0
		.amdhsa_exception_fp_ieee_inexact 0
		.amdhsa_exception_int_div_zero 0
	.end_amdhsa_kernel
	.section	.text._ZN7rocprim6detail19block_reduce_kernelILb0ELb1ELj1ENS0_21wrapped_reduce_configINS_14default_configEdEEdPdS5_dN6thrust4plusIdEEEEvT4_mT5_T6_T7_,"axG",@progbits,_ZN7rocprim6detail19block_reduce_kernelILb0ELb1ELj1ENS0_21wrapped_reduce_configINS_14default_configEdEEdPdS5_dN6thrust4plusIdEEEEvT4_mT5_T6_T7_,comdat
.Lfunc_end3:
	.size	_ZN7rocprim6detail19block_reduce_kernelILb0ELb1ELj1ENS0_21wrapped_reduce_configINS_14default_configEdEEdPdS5_dN6thrust4plusIdEEEEvT4_mT5_T6_T7_, .Lfunc_end3-_ZN7rocprim6detail19block_reduce_kernelILb0ELb1ELj1ENS0_21wrapped_reduce_configINS_14default_configEdEEdPdS5_dN6thrust4plusIdEEEEvT4_mT5_T6_T7_
                                        ; -- End function
	.section	.AMDGPU.csdata,"",@progbits
; Kernel info:
; codeLenInByte = 2080
; NumSgprs: 19
; NumVgprs: 21
; ScratchSize: 0
; MemoryBound: 1
; FloatMode: 240
; IeeeMode: 1
; LDSByteSize: 128 bytes/workgroup (compile time only)
; SGPRBlocks: 2
; VGPRBlocks: 2
; NumSGPRsForWavesPerEU: 19
; NumVGPRsForWavesPerEU: 21
; Occupancy: 16
; WaveLimiterHint : 1
; COMPUTE_PGM_RSRC2:SCRATCH_EN: 0
; COMPUTE_PGM_RSRC2:USER_SGPR: 6
; COMPUTE_PGM_RSRC2:TRAP_HANDLER: 0
; COMPUTE_PGM_RSRC2:TGID_X_EN: 1
; COMPUTE_PGM_RSRC2:TGID_Y_EN: 0
; COMPUTE_PGM_RSRC2:TGID_Z_EN: 0
; COMPUTE_PGM_RSRC2:TIDIG_COMP_CNT: 0
	.section	.text._ZN7rocprim6detail19block_reduce_kernelILb1ELb1ELj2ENS0_21wrapped_reduce_configINS_14default_configEdEEdPdS5_dN6thrust4plusIdEEEEvT4_mT5_T6_T7_,"axG",@progbits,_ZN7rocprim6detail19block_reduce_kernelILb1ELb1ELj2ENS0_21wrapped_reduce_configINS_14default_configEdEEdPdS5_dN6thrust4plusIdEEEEvT4_mT5_T6_T7_,comdat
	.protected	_ZN7rocprim6detail19block_reduce_kernelILb1ELb1ELj2ENS0_21wrapped_reduce_configINS_14default_configEdEEdPdS5_dN6thrust4plusIdEEEEvT4_mT5_T6_T7_ ; -- Begin function _ZN7rocprim6detail19block_reduce_kernelILb1ELb1ELj2ENS0_21wrapped_reduce_configINS_14default_configEdEEdPdS5_dN6thrust4plusIdEEEEvT4_mT5_T6_T7_
	.globl	_ZN7rocprim6detail19block_reduce_kernelILb1ELb1ELj2ENS0_21wrapped_reduce_configINS_14default_configEdEEdPdS5_dN6thrust4plusIdEEEEvT4_mT5_T6_T7_
	.p2align	8
	.type	_ZN7rocprim6detail19block_reduce_kernelILb1ELb1ELj2ENS0_21wrapped_reduce_configINS_14default_configEdEEdPdS5_dN6thrust4plusIdEEEEvT4_mT5_T6_T7_,@function
_ZN7rocprim6detail19block_reduce_kernelILb1ELb1ELj2ENS0_21wrapped_reduce_configINS_14default_configEdEEdPdS5_dN6thrust4plusIdEEEEvT4_mT5_T6_T7_: ; @_ZN7rocprim6detail19block_reduce_kernelILb1ELb1ELj2ENS0_21wrapped_reduce_configINS_14default_configEdEEdPdS5_dN6thrust4plusIdEEEEvT4_mT5_T6_T7_
; %bb.0:
	s_load_dwordx8 s[16:23], s[4:5], 0x0
	s_mov_b32 s1, 0
	s_lshl_b32 s0, s6, 12
	v_lshlrev_b32_e32 v1, 3, v0
	s_lshl_b64 s[2:3], s[0:1], 3
	s_mov_b32 s7, s1
	v_mbcnt_lo_u32_b32 v35, -1, 0
	s_waitcnt lgkmcnt(0)
	s_lshr_b64 s[4:5], s[18:19], 12
	s_add_u32 s1, s16, s2
	s_addc_u32 s2, s17, s3
	v_add_co_u32 v33, s1, s1, v1
	v_add_co_ci_u32_e64 v34, null, s2, 0, s1
	s_cmp_lg_u64 s[4:5], s[6:7]
	s_cbranch_scc0 .LBB4_6
; %bb.1:
	v_add_co_u32 v1, vcc_lo, v33, 0x1000
	v_add_co_ci_u32_e32 v2, vcc_lo, 0, v34, vcc_lo
	v_add_co_u32 v7, vcc_lo, v33, 0x2000
	s_clause 0x2
	global_load_dwordx2 v[3:4], v[33:34], off
	global_load_dwordx2 v[5:6], v[1:2], off offset:-2048
	global_load_dwordx2 v[1:2], v[1:2], off
	v_add_co_ci_u32_e32 v8, vcc_lo, 0, v34, vcc_lo
	v_add_co_u32 v11, vcc_lo, v33, 0x3000
	s_clause 0x1
	global_load_dwordx2 v[9:10], v[7:8], off offset:-2048
	global_load_dwordx2 v[7:8], v[7:8], off
	v_add_co_ci_u32_e32 v12, vcc_lo, 0, v34, vcc_lo
	s_clause 0x1
	global_load_dwordx2 v[13:14], v[11:12], off offset:-2048
	global_load_dwordx2 v[11:12], v[11:12], off
	v_add_co_u32 v15, vcc_lo, v33, 0x4000
	v_add_co_ci_u32_e32 v16, vcc_lo, 0, v34, vcc_lo
	s_clause 0x1
	global_load_dwordx2 v[17:18], v[15:16], off offset:-2048
	global_load_dwordx2 v[15:16], v[15:16], off
	v_add_co_u32 v19, vcc_lo, v33, 0x5000
	;; [unrolled: 5-line block ×5, first 2 shown]
	v_add_co_ci_u32_e32 v32, vcc_lo, 0, v34, vcc_lo
	s_mov_b32 s1, exec_lo
	global_load_dwordx2 v[31:32], v[31:32], off
	s_waitcnt vmcnt(14)
	v_add_f64 v[3:4], v[3:4], v[5:6]
	s_waitcnt vmcnt(13)
	v_add_f64 v[1:2], v[3:4], v[1:2]
	;; [unrolled: 2-line block ×15, first 2 shown]
	v_mov_b32_dpp v3, v1 quad_perm:[1,0,3,2] row_mask:0xf bank_mask:0xf
	v_mov_b32_dpp v4, v2 quad_perm:[1,0,3,2] row_mask:0xf bank_mask:0xf
	v_add_f64 v[1:2], v[1:2], v[3:4]
	v_mov_b32_dpp v3, v1 quad_perm:[2,3,0,1] row_mask:0xf bank_mask:0xf
	v_mov_b32_dpp v4, v2 quad_perm:[2,3,0,1] row_mask:0xf bank_mask:0xf
	v_add_f64 v[1:2], v[1:2], v[3:4]
	v_mov_b32_dpp v3, v1 row_ror:4 row_mask:0xf bank_mask:0xf
	v_mov_b32_dpp v4, v2 row_ror:4 row_mask:0xf bank_mask:0xf
	v_add_f64 v[1:2], v[1:2], v[3:4]
	v_mov_b32_dpp v3, v1 row_ror:8 row_mask:0xf bank_mask:0xf
	v_mov_b32_dpp v4, v2 row_ror:8 row_mask:0xf bank_mask:0xf
	v_add_f64 v[1:2], v[1:2], v[3:4]
	ds_swizzle_b32 v3, v1 offset:swizzle(BROADCAST,32,15)
	ds_swizzle_b32 v4, v2 offset:swizzle(BROADCAST,32,15)
	s_waitcnt lgkmcnt(0)
	v_add_f64 v[1:2], v[1:2], v[3:4]
	v_mov_b32_e32 v3, 0
	ds_bpermute_b32 v1, v3, v1 offset:124
	ds_bpermute_b32 v2, v3, v2 offset:124
	v_cmpx_eq_u32_e32 0, v35
	s_cbranch_execz .LBB4_3
; %bb.2:
	v_lshrrev_b32_e32 v3, 2, v0
	v_and_b32_e32 v3, 56, v3
	s_waitcnt lgkmcnt(0)
	ds_write_b64 v3, v[1:2]
.LBB4_3:
	s_or_b32 exec_lo, exec_lo, s1
	s_mov_b32 s1, exec_lo
	s_waitcnt lgkmcnt(0)
	s_barrier
	buffer_gl0_inv
	v_cmpx_gt_u32_e32 32, v0
	s_cbranch_execz .LBB4_5
; %bb.4:
	v_and_b32_e32 v5, 7, v35
	v_lshlrev_b32_e32 v1, 3, v5
	v_cmp_ne_u32_e32 vcc_lo, 7, v5
	ds_read_b64 v[1:2], v1
	v_add_co_ci_u32_e32 v3, vcc_lo, 0, v35, vcc_lo
	v_cmp_gt_u32_e32 vcc_lo, 6, v5
	v_lshlrev_b32_e32 v4, 2, v3
	s_waitcnt lgkmcnt(0)
	ds_bpermute_b32 v3, v4, v1
	ds_bpermute_b32 v4, v4, v2
	s_waitcnt lgkmcnt(0)
	v_add_f64 v[1:2], v[1:2], v[3:4]
	v_cndmask_b32_e64 v3, 0, 1, vcc_lo
	v_cmp_gt_u32_e32 vcc_lo, 4, v5
	v_lshlrev_b32_e32 v3, 1, v3
	v_add_lshl_u32 v4, v3, v35, 2
	ds_bpermute_b32 v3, v4, v1
	ds_bpermute_b32 v4, v4, v2
	s_waitcnt lgkmcnt(0)
	v_add_f64 v[1:2], v[1:2], v[3:4]
	v_cndmask_b32_e64 v3, 0, 1, vcc_lo
	v_lshlrev_b32_e32 v3, 2, v3
	v_add_lshl_u32 v4, v3, v35, 2
	ds_bpermute_b32 v3, v4, v1
	ds_bpermute_b32 v4, v4, v2
	s_waitcnt lgkmcnt(0)
	v_add_f64 v[1:2], v[1:2], v[3:4]
.LBB4_5:
	s_or_b32 exec_lo, exec_lo, s1
	s_branch .LBB4_60
.LBB4_6:
                                        ; implicit-def: $vgpr1_vgpr2
	s_cbranch_execz .LBB4_60
; %bb.7:
	s_sub_i32 s17, s18, s0
	s_mov_b32 s0, exec_lo
                                        ; implicit-def: $vgpr1_vgpr2_vgpr3_vgpr4_vgpr5_vgpr6_vgpr7_vgpr8_vgpr9_vgpr10_vgpr11_vgpr12_vgpr13_vgpr14_vgpr15_vgpr16_vgpr17_vgpr18_vgpr19_vgpr20_vgpr21_vgpr22_vgpr23_vgpr24_vgpr25_vgpr26_vgpr27_vgpr28_vgpr29_vgpr30_vgpr31_vgpr32
	v_cmpx_gt_u32_e64 s17, v0
	s_cbranch_execz .LBB4_9
; %bb.8:
	global_load_dwordx2 v[1:2], v[33:34], off
.LBB4_9:
	s_or_b32 exec_lo, exec_lo, s0
	v_or_b32_e32 v36, 0x100, v0
	v_cmp_gt_u32_e32 vcc_lo, s17, v36
	s_and_saveexec_b32 s1, vcc_lo
	s_cbranch_execz .LBB4_11
; %bb.10:
	v_add_co_u32 v3, s0, 0x800, v33
	v_add_co_ci_u32_e64 v4, s0, 0, v34, s0
	global_load_dwordx2 v[3:4], v[3:4], off
.LBB4_11:
	s_or_b32 exec_lo, exec_lo, s1
	v_or_b32_e32 v36, 0x200, v0
	v_cmp_gt_u32_e64 s0, s17, v36
	s_and_saveexec_b32 s2, s0
	s_cbranch_execz .LBB4_13
; %bb.12:
	v_add_co_u32 v5, s1, 0x1000, v33
	v_add_co_ci_u32_e64 v6, s1, 0, v34, s1
	global_load_dwordx2 v[5:6], v[5:6], off
.LBB4_13:
	s_or_b32 exec_lo, exec_lo, s2
	v_or_b32_e32 v36, 0x300, v0
	v_cmp_gt_u32_e64 s1, s17, v36
	s_and_saveexec_b32 s3, s1
	;; [unrolled: 10-line block ×14, first 2 shown]
	s_cbranch_execz .LBB4_39
; %bb.38:
	v_add_co_u32 v31, s16, 0x7800, v33
	v_add_co_ci_u32_e64 v32, s16, 0, v34, s16
	global_load_dwordx2 v[31:32], v[31:32], off
.LBB4_39:
	s_or_b32 exec_lo, exec_lo, s24
	s_waitcnt vmcnt(0)
	v_add_f64 v[3:4], v[1:2], v[3:4]
	v_cndmask_b32_e32 v2, v2, v4, vcc_lo
	v_cndmask_b32_e32 v1, v1, v3, vcc_lo
	v_cmp_ne_u32_e32 vcc_lo, 31, v35
	v_add_f64 v[3:4], v[5:6], v[1:2]
	v_add_co_ci_u32_e32 v5, vcc_lo, 0, v35, vcc_lo
	v_add_nc_u32_e32 v6, 1, v35
	v_lshlrev_b32_e32 v5, 2, v5
	v_cndmask_b32_e64 v2, v2, v4, s0
	v_cndmask_b32_e64 v1, v1, v3, s0
	s_min_u32 s0, s17, 0x100
	v_add_f64 v[3:4], v[7:8], v[1:2]
	v_cndmask_b32_e64 v2, v2, v4, s1
	v_cndmask_b32_e64 v1, v1, v3, s1
	s_mov_b32 s1, exec_lo
	v_add_f64 v[3:4], v[9:10], v[1:2]
	v_cndmask_b32_e64 v2, v2, v4, s2
	v_cndmask_b32_e64 v1, v1, v3, s2
	v_add_f64 v[3:4], v[11:12], v[1:2]
	v_cndmask_b32_e64 v2, v2, v4, s3
	v_cndmask_b32_e64 v1, v1, v3, s3
	;; [unrolled: 3-line block ×12, first 2 shown]
	ds_bpermute_b32 v3, v5, v1
	ds_bpermute_b32 v4, v5, v2
	v_and_b32_e32 v5, 0xe0, v0
	v_sub_nc_u32_e64 v5, s0, v5 clamp
	v_cmpx_lt_u32_e64 v6, v5
	s_cbranch_execz .LBB4_41
; %bb.40:
	s_waitcnt lgkmcnt(0)
	v_add_f64 v[1:2], v[1:2], v[3:4]
.LBB4_41:
	s_or_b32 exec_lo, exec_lo, s1
	v_cmp_gt_u32_e32 vcc_lo, 30, v35
	v_add_nc_u32_e32 v6, 2, v35
	s_mov_b32 s1, exec_lo
	s_waitcnt lgkmcnt(1)
	v_cndmask_b32_e64 v3, 0, 1, vcc_lo
	v_lshlrev_b32_e32 v3, 1, v3
	s_waitcnt lgkmcnt(0)
	v_add_lshl_u32 v4, v3, v35, 2
	ds_bpermute_b32 v3, v4, v1
	ds_bpermute_b32 v4, v4, v2
	v_cmpx_lt_u32_e64 v6, v5
	s_cbranch_execz .LBB4_43
; %bb.42:
	s_waitcnt lgkmcnt(0)
	v_add_f64 v[1:2], v[1:2], v[3:4]
.LBB4_43:
	s_or_b32 exec_lo, exec_lo, s1
	v_cmp_gt_u32_e32 vcc_lo, 28, v35
	v_add_nc_u32_e32 v6, 4, v35
	s_mov_b32 s1, exec_lo
	s_waitcnt lgkmcnt(1)
	v_cndmask_b32_e64 v3, 0, 1, vcc_lo
	v_lshlrev_b32_e32 v3, 2, v3
	s_waitcnt lgkmcnt(0)
	v_add_lshl_u32 v4, v3, v35, 2
	ds_bpermute_b32 v3, v4, v1
	ds_bpermute_b32 v4, v4, v2
	;; [unrolled: 17-line block ×4, first 2 shown]
	v_cmpx_lt_u32_e64 v6, v5
	s_cbranch_execz .LBB4_49
; %bb.48:
	s_waitcnt lgkmcnt(0)
	v_add_f64 v[1:2], v[1:2], v[3:4]
.LBB4_49:
	s_or_b32 exec_lo, exec_lo, s1
	s_mov_b32 s1, exec_lo
	v_cmpx_eq_u32_e32 0, v35
	s_cbranch_execz .LBB4_51
; %bb.50:
	s_waitcnt lgkmcnt(1)
	v_lshrrev_b32_e32 v3, 2, v0
	v_and_b32_e32 v3, 56, v3
	ds_write_b64 v3, v[1:2] offset:64
.LBB4_51:
	s_or_b32 exec_lo, exec_lo, s1
	s_mov_b32 s1, exec_lo
	s_waitcnt lgkmcnt(0)
	s_barrier
	buffer_gl0_inv
	v_cmpx_gt_u32_e32 8, v0
	s_cbranch_execz .LBB4_59
; %bb.52:
	v_lshlrev_b32_e32 v1, 3, v35
	v_and_b32_e32 v5, 7, v35
	s_add_i32 s0, s0, 31
	s_mov_b32 s2, exec_lo
	s_lshr_b32 s0, s0, 5
	ds_read_b64 v[1:2], v1 offset:64
	v_cmp_ne_u32_e32 vcc_lo, 7, v5
	v_add_nc_u32_e32 v6, 1, v5
	v_add_co_ci_u32_e32 v3, vcc_lo, 0, v35, vcc_lo
	v_lshlrev_b32_e32 v4, 2, v3
	s_waitcnt lgkmcnt(0)
	ds_bpermute_b32 v3, v4, v1
	ds_bpermute_b32 v4, v4, v2
	v_cmpx_gt_u32_e64 s0, v6
	s_cbranch_execz .LBB4_54
; %bb.53:
	s_waitcnt lgkmcnt(0)
	v_add_f64 v[1:2], v[1:2], v[3:4]
.LBB4_54:
	s_or_b32 exec_lo, exec_lo, s2
	v_cmp_gt_u32_e32 vcc_lo, 6, v5
	v_add_nc_u32_e32 v6, 2, v5
	s_mov_b32 s2, exec_lo
	s_waitcnt lgkmcnt(1)
	v_cndmask_b32_e64 v3, 0, 1, vcc_lo
	v_lshlrev_b32_e32 v3, 1, v3
	s_waitcnt lgkmcnt(0)
	v_add_lshl_u32 v4, v3, v35, 2
	ds_bpermute_b32 v3, v4, v1
	ds_bpermute_b32 v4, v4, v2
	v_cmpx_gt_u32_e64 s0, v6
	s_cbranch_execz .LBB4_56
; %bb.55:
	s_waitcnt lgkmcnt(0)
	v_add_f64 v[1:2], v[1:2], v[3:4]
.LBB4_56:
	s_or_b32 exec_lo, exec_lo, s2
	v_cmp_gt_u32_e32 vcc_lo, 4, v5
	v_add_nc_u32_e32 v5, 4, v5
	s_waitcnt lgkmcnt(1)
	v_cndmask_b32_e64 v3, 0, 1, vcc_lo
	v_cmp_gt_u32_e32 vcc_lo, s0, v5
	v_lshlrev_b32_e32 v3, 2, v3
	s_waitcnt lgkmcnt(0)
	v_add_lshl_u32 v4, v3, v35, 2
	ds_bpermute_b32 v3, v4, v1
	ds_bpermute_b32 v4, v4, v2
	s_and_saveexec_b32 s0, vcc_lo
	s_cbranch_execz .LBB4_58
; %bb.57:
	s_waitcnt lgkmcnt(0)
	v_add_f64 v[1:2], v[1:2], v[3:4]
.LBB4_58:
	s_or_b32 exec_lo, exec_lo, s0
.LBB4_59:
	s_or_b32 exec_lo, exec_lo, s1
.LBB4_60:
	s_mov_b32 s0, exec_lo
	v_cmpx_eq_u32_e32 0, v0
	s_cbranch_execz .LBB4_62
; %bb.61:
	v_add_f64 v[0:1], v[1:2], s[22:23]
	s_lshl_b64 s[0:1], s[6:7], 3
	v_mov_b32_e32 v2, 0
	s_add_u32 s0, s20, s0
	s_addc_u32 s1, s21, s1
	s_cmp_eq_u64 s[18:19], 0
	s_cselect_b32 s2, -1, 0
	v_cndmask_b32_e64 v1, v1, s23, s2
	v_cndmask_b32_e64 v0, v0, s22, s2
	global_store_dwordx2 v2, v[0:1], s[0:1]
.LBB4_62:
	s_endpgm
	.section	.rodata,"a",@progbits
	.p2align	6, 0x0
	.amdhsa_kernel _ZN7rocprim6detail19block_reduce_kernelILb1ELb1ELj2ENS0_21wrapped_reduce_configINS_14default_configEdEEdPdS5_dN6thrust4plusIdEEEEvT4_mT5_T6_T7_
		.amdhsa_group_segment_fixed_size 128
		.amdhsa_private_segment_fixed_size 0
		.amdhsa_kernarg_size 36
		.amdhsa_user_sgpr_count 6
		.amdhsa_user_sgpr_private_segment_buffer 1
		.amdhsa_user_sgpr_dispatch_ptr 0
		.amdhsa_user_sgpr_queue_ptr 0
		.amdhsa_user_sgpr_kernarg_segment_ptr 1
		.amdhsa_user_sgpr_dispatch_id 0
		.amdhsa_user_sgpr_flat_scratch_init 0
		.amdhsa_user_sgpr_private_segment_size 0
		.amdhsa_wavefront_size32 1
		.amdhsa_uses_dynamic_stack 0
		.amdhsa_system_sgpr_private_segment_wavefront_offset 0
		.amdhsa_system_sgpr_workgroup_id_x 1
		.amdhsa_system_sgpr_workgroup_id_y 0
		.amdhsa_system_sgpr_workgroup_id_z 0
		.amdhsa_system_sgpr_workgroup_info 0
		.amdhsa_system_vgpr_workitem_id 0
		.amdhsa_next_free_vgpr 37
		.amdhsa_next_free_sgpr 25
		.amdhsa_reserve_vcc 1
		.amdhsa_reserve_flat_scratch 0
		.amdhsa_float_round_mode_32 0
		.amdhsa_float_round_mode_16_64 0
		.amdhsa_float_denorm_mode_32 3
		.amdhsa_float_denorm_mode_16_64 3
		.amdhsa_dx10_clamp 1
		.amdhsa_ieee_mode 1
		.amdhsa_fp16_overflow 0
		.amdhsa_workgroup_processor_mode 1
		.amdhsa_memory_ordered 1
		.amdhsa_forward_progress 0
		.amdhsa_shared_vgpr_count 0
		.amdhsa_exception_fp_ieee_invalid_op 0
		.amdhsa_exception_fp_denorm_src 0
		.amdhsa_exception_fp_ieee_div_zero 0
		.amdhsa_exception_fp_ieee_overflow 0
		.amdhsa_exception_fp_ieee_underflow 0
		.amdhsa_exception_fp_ieee_inexact 0
		.amdhsa_exception_int_div_zero 0
	.end_amdhsa_kernel
	.section	.text._ZN7rocprim6detail19block_reduce_kernelILb1ELb1ELj2ENS0_21wrapped_reduce_configINS_14default_configEdEEdPdS5_dN6thrust4plusIdEEEEvT4_mT5_T6_T7_,"axG",@progbits,_ZN7rocprim6detail19block_reduce_kernelILb1ELb1ELj2ENS0_21wrapped_reduce_configINS_14default_configEdEEdPdS5_dN6thrust4plusIdEEEEvT4_mT5_T6_T7_,comdat
.Lfunc_end4:
	.size	_ZN7rocprim6detail19block_reduce_kernelILb1ELb1ELj2ENS0_21wrapped_reduce_configINS_14default_configEdEEdPdS5_dN6thrust4plusIdEEEEvT4_mT5_T6_T7_, .Lfunc_end4-_ZN7rocprim6detail19block_reduce_kernelILb1ELb1ELj2ENS0_21wrapped_reduce_configINS_14default_configEdEEdPdS5_dN6thrust4plusIdEEEEvT4_mT5_T6_T7_
                                        ; -- End function
	.section	.AMDGPU.csdata,"",@progbits
; Kernel info:
; codeLenInByte = 2968
; NumSgprs: 27
; NumVgprs: 37
; ScratchSize: 0
; MemoryBound: 1
; FloatMode: 240
; IeeeMode: 1
; LDSByteSize: 128 bytes/workgroup (compile time only)
; SGPRBlocks: 3
; VGPRBlocks: 4
; NumSGPRsForWavesPerEU: 27
; NumVGPRsForWavesPerEU: 37
; Occupancy: 16
; WaveLimiterHint : 1
; COMPUTE_PGM_RSRC2:SCRATCH_EN: 0
; COMPUTE_PGM_RSRC2:USER_SGPR: 6
; COMPUTE_PGM_RSRC2:TRAP_HANDLER: 0
; COMPUTE_PGM_RSRC2:TGID_X_EN: 1
; COMPUTE_PGM_RSRC2:TGID_Y_EN: 0
; COMPUTE_PGM_RSRC2:TGID_Z_EN: 0
; COMPUTE_PGM_RSRC2:TIDIG_COMP_CNT: 0
	.section	.text._ZN7rocprim6detail19block_reduce_kernelILb1ELb1ELj4ENS0_21wrapped_reduce_configINS_14default_configEdEEdPdS5_dN6thrust4plusIdEEEEvT4_mT5_T6_T7_,"axG",@progbits,_ZN7rocprim6detail19block_reduce_kernelILb1ELb1ELj4ENS0_21wrapped_reduce_configINS_14default_configEdEEdPdS5_dN6thrust4plusIdEEEEvT4_mT5_T6_T7_,comdat
	.protected	_ZN7rocprim6detail19block_reduce_kernelILb1ELb1ELj4ENS0_21wrapped_reduce_configINS_14default_configEdEEdPdS5_dN6thrust4plusIdEEEEvT4_mT5_T6_T7_ ; -- Begin function _ZN7rocprim6detail19block_reduce_kernelILb1ELb1ELj4ENS0_21wrapped_reduce_configINS_14default_configEdEEdPdS5_dN6thrust4plusIdEEEEvT4_mT5_T6_T7_
	.globl	_ZN7rocprim6detail19block_reduce_kernelILb1ELb1ELj4ENS0_21wrapped_reduce_configINS_14default_configEdEEdPdS5_dN6thrust4plusIdEEEEvT4_mT5_T6_T7_
	.p2align	8
	.type	_ZN7rocprim6detail19block_reduce_kernelILb1ELb1ELj4ENS0_21wrapped_reduce_configINS_14default_configEdEEdPdS5_dN6thrust4plusIdEEEEvT4_mT5_T6_T7_,@function
_ZN7rocprim6detail19block_reduce_kernelILb1ELb1ELj4ENS0_21wrapped_reduce_configINS_14default_configEdEEdPdS5_dN6thrust4plusIdEEEEvT4_mT5_T6_T7_: ; @_ZN7rocprim6detail19block_reduce_kernelILb1ELb1ELj4ENS0_21wrapped_reduce_configINS_14default_configEdEEdPdS5_dN6thrust4plusIdEEEEvT4_mT5_T6_T7_
; %bb.0:
	s_load_dwordx8 s[36:43], s[4:5], 0x0
	s_mov_b32 s1, 0
	s_lshl_b32 s0, s6, 13
	v_lshlrev_b32_e32 v1, 3, v0
	s_lshl_b64 s[2:3], s[0:1], 3
	s_mov_b32 s7, s1
	v_mbcnt_lo_u32_b32 v67, -1, 0
	s_waitcnt lgkmcnt(0)
	s_lshr_b64 s[4:5], s[38:39], 13
	s_add_u32 s1, s36, s2
	s_addc_u32 s2, s37, s3
	v_add_co_u32 v1, s1, s1, v1
	v_add_co_ci_u32_e64 v2, null, s2, 0, s1
	s_cmp_lg_u64 s[4:5], s[6:7]
	s_cbranch_scc0 .LBB5_6
; %bb.1:
	v_add_co_u32 v3, vcc_lo, v1, 0x1000
	v_add_co_ci_u32_e32 v4, vcc_lo, 0, v2, vcc_lo
	v_add_co_u32 v9, vcc_lo, v1, 0x2000
	s_clause 0x2
	global_load_dwordx2 v[5:6], v[1:2], off
	global_load_dwordx2 v[7:8], v[3:4], off offset:-2048
	global_load_dwordx2 v[3:4], v[3:4], off
	v_add_co_ci_u32_e32 v10, vcc_lo, 0, v2, vcc_lo
	v_add_co_u32 v13, vcc_lo, v1, 0x3000
	s_clause 0x1
	global_load_dwordx2 v[11:12], v[9:10], off offset:-2048
	global_load_dwordx2 v[9:10], v[9:10], off
	v_add_co_ci_u32_e32 v14, vcc_lo, 0, v2, vcc_lo
	s_clause 0x1
	global_load_dwordx2 v[15:16], v[13:14], off offset:-2048
	global_load_dwordx2 v[13:14], v[13:14], off
	v_add_co_u32 v17, vcc_lo, v1, 0x4000
	v_add_co_ci_u32_e32 v18, vcc_lo, 0, v2, vcc_lo
	s_clause 0x1
	global_load_dwordx2 v[19:20], v[17:18], off offset:-2048
	global_load_dwordx2 v[17:18], v[17:18], off
	v_add_co_u32 v21, vcc_lo, v1, 0x5000
	;; [unrolled: 5-line block ×5, first 2 shown]
	v_add_co_ci_u32_e32 v34, vcc_lo, 0, v2, vcc_lo
	v_add_co_u32 v37, vcc_lo, 0xf800, v1
	v_add_co_ci_u32_e32 v38, vcc_lo, 0, v2, vcc_lo
	global_load_dwordx2 v[35:36], v[33:34], off offset:-2048
	s_mov_b32 s1, exec_lo
	global_load_dwordx2 v[37:38], v[37:38], off
	s_waitcnt vmcnt(15)
	v_add_f64 v[5:6], v[5:6], v[7:8]
	global_load_dwordx2 v[7:8], v[33:34], off
	s_waitcnt vmcnt(15)
	v_add_f64 v[3:4], v[5:6], v[3:4]
	v_add_co_u32 v5, vcc_lo, v1, 0x9000
	v_add_co_ci_u32_e32 v6, vcc_lo, 0, v2, vcc_lo
	s_waitcnt vmcnt(14)
	v_add_f64 v[3:4], v[3:4], v[11:12]
	s_waitcnt vmcnt(13)
	v_add_f64 v[3:4], v[3:4], v[9:10]
	v_add_co_u32 v9, vcc_lo, v1, 0xa000
	v_add_co_ci_u32_e32 v10, vcc_lo, 0, v2, vcc_lo
	global_load_dwordx2 v[11:12], v[9:10], off offset:-2048
	s_waitcnt vmcnt(13)
	v_add_f64 v[3:4], v[3:4], v[15:16]
	s_waitcnt vmcnt(12)
	v_add_f64 v[3:4], v[3:4], v[13:14]
	v_add_co_u32 v13, vcc_lo, v1, 0xb000
	v_add_co_ci_u32_e32 v14, vcc_lo, 0, v2, vcc_lo
	global_load_dwordx2 v[15:16], v[13:14], off offset:-2048
	s_waitcnt vmcnt(12)
	v_add_f64 v[3:4], v[3:4], v[19:20]
	s_waitcnt vmcnt(11)
	v_add_f64 v[3:4], v[3:4], v[17:18]
	v_add_co_u32 v17, vcc_lo, v1, 0xc000
	v_add_co_ci_u32_e32 v18, vcc_lo, 0, v2, vcc_lo
	s_clause 0x3
	global_load_dwordx2 v[19:20], v[17:18], off offset:-2048
	global_load_dwordx2 v[9:10], v[9:10], off
	global_load_dwordx2 v[13:14], v[13:14], off
	global_load_dwordx2 v[17:18], v[17:18], off
	s_waitcnt vmcnt(14)
	v_add_f64 v[3:4], v[3:4], v[23:24]
	s_waitcnt vmcnt(13)
	v_add_f64 v[3:4], v[3:4], v[21:22]
	v_add_co_u32 v21, vcc_lo, v1, 0xd000
	v_add_co_ci_u32_e32 v22, vcc_lo, 0, v2, vcc_lo
	global_load_dwordx2 v[23:24], v[21:22], off offset:-2048
	s_waitcnt vmcnt(13)
	v_add_f64 v[3:4], v[3:4], v[27:28]
	s_waitcnt vmcnt(12)
	v_add_f64 v[3:4], v[3:4], v[25:26]
	v_add_co_u32 v25, vcc_lo, v1, 0xe000
	v_add_co_ci_u32_e32 v26, vcc_lo, 0, v2, vcc_lo
	global_load_dwordx2 v[27:28], v[25:26], off offset:-2048
	s_waitcnt vmcnt(12)
	v_add_f64 v[3:4], v[3:4], v[31:32]
	s_waitcnt vmcnt(11)
	v_add_f64 v[3:4], v[3:4], v[29:30]
	v_add_co_u32 v29, vcc_lo, v1, 0xf000
	v_add_co_ci_u32_e32 v30, vcc_lo, 0, v2, vcc_lo
	s_clause 0x5
	global_load_dwordx2 v[31:32], v[29:30], off offset:-2048
	global_load_dwordx2 v[21:22], v[21:22], off
	global_load_dwordx2 v[25:26], v[25:26], off
	;; [unrolled: 1-line block ×3, first 2 shown]
	global_load_dwordx2 v[33:34], v[5:6], off offset:-2048
	global_load_dwordx2 v[5:6], v[5:6], off
	s_waitcnt vmcnt(16)
	v_add_f64 v[3:4], v[3:4], v[35:36]
	s_waitcnt vmcnt(14)
	v_add_f64 v[3:4], v[3:4], v[7:8]
	;; [unrolled: 2-line block ×4, first 2 shown]
	v_add_f64 v[3:4], v[3:4], v[11:12]
	v_add_f64 v[3:4], v[3:4], v[9:10]
	;; [unrolled: 1-line block ×13, first 2 shown]
	v_mov_b32_dpp v5, v3 quad_perm:[1,0,3,2] row_mask:0xf bank_mask:0xf
	v_mov_b32_dpp v6, v4 quad_perm:[1,0,3,2] row_mask:0xf bank_mask:0xf
	v_add_f64 v[3:4], v[3:4], v[5:6]
	v_mov_b32_dpp v5, v3 quad_perm:[2,3,0,1] row_mask:0xf bank_mask:0xf
	v_mov_b32_dpp v6, v4 quad_perm:[2,3,0,1] row_mask:0xf bank_mask:0xf
	v_add_f64 v[3:4], v[3:4], v[5:6]
	v_mov_b32_dpp v5, v3 row_ror:4 row_mask:0xf bank_mask:0xf
	v_mov_b32_dpp v6, v4 row_ror:4 row_mask:0xf bank_mask:0xf
	v_add_f64 v[3:4], v[3:4], v[5:6]
	v_mov_b32_dpp v5, v3 row_ror:8 row_mask:0xf bank_mask:0xf
	v_mov_b32_dpp v6, v4 row_ror:8 row_mask:0xf bank_mask:0xf
	v_add_f64 v[3:4], v[3:4], v[5:6]
	ds_swizzle_b32 v5, v3 offset:swizzle(BROADCAST,32,15)
	ds_swizzle_b32 v6, v4 offset:swizzle(BROADCAST,32,15)
	s_waitcnt lgkmcnt(0)
	v_add_f64 v[3:4], v[3:4], v[5:6]
	v_mov_b32_e32 v5, 0
	ds_bpermute_b32 v3, v5, v3 offset:124
	ds_bpermute_b32 v4, v5, v4 offset:124
	v_cmpx_eq_u32_e32 0, v67
	s_cbranch_execz .LBB5_3
; %bb.2:
	v_lshrrev_b32_e32 v5, 2, v0
	v_and_b32_e32 v5, 56, v5
	s_waitcnt lgkmcnt(0)
	ds_write_b64 v5, v[3:4]
.LBB5_3:
	s_or_b32 exec_lo, exec_lo, s1
	s_mov_b32 s1, exec_lo
	s_waitcnt lgkmcnt(0)
	s_barrier
	buffer_gl0_inv
	v_cmpx_gt_u32_e32 32, v0
	s_cbranch_execz .LBB5_5
; %bb.4:
	v_and_b32_e32 v7, 7, v67
	v_lshlrev_b32_e32 v3, 3, v7
	v_cmp_ne_u32_e32 vcc_lo, 7, v7
	ds_read_b64 v[3:4], v3
	v_add_co_ci_u32_e32 v5, vcc_lo, 0, v67, vcc_lo
	v_cmp_gt_u32_e32 vcc_lo, 6, v7
	v_lshlrev_b32_e32 v6, 2, v5
	s_waitcnt lgkmcnt(0)
	ds_bpermute_b32 v5, v6, v3
	ds_bpermute_b32 v6, v6, v4
	s_waitcnt lgkmcnt(0)
	v_add_f64 v[3:4], v[3:4], v[5:6]
	v_cndmask_b32_e64 v5, 0, 1, vcc_lo
	v_cmp_gt_u32_e32 vcc_lo, 4, v7
	v_lshlrev_b32_e32 v5, 1, v5
	v_add_lshl_u32 v6, v5, v67, 2
	ds_bpermute_b32 v5, v6, v3
	ds_bpermute_b32 v6, v6, v4
	s_waitcnt lgkmcnt(0)
	v_add_f64 v[3:4], v[3:4], v[5:6]
	v_cndmask_b32_e64 v5, 0, 1, vcc_lo
	v_lshlrev_b32_e32 v5, 2, v5
	v_add_lshl_u32 v6, v5, v67, 2
	ds_bpermute_b32 v5, v6, v3
	ds_bpermute_b32 v6, v6, v4
	s_waitcnt lgkmcnt(0)
	v_add_f64 v[3:4], v[3:4], v[5:6]
.LBB5_5:
	s_or_b32 exec_lo, exec_lo, s1
	s_branch .LBB5_92
.LBB5_6:
                                        ; implicit-def: $vgpr3_vgpr4
	s_cbranch_execz .LBB5_92
; %bb.7:
	s_sub_i32 s34, s38, s0
	s_mov_b32 s0, exec_lo
                                        ; implicit-def: $vgpr3_vgpr4
	v_cmpx_gt_u32_e64 s34, v0
	s_cbranch_execz .LBB5_9
; %bb.8:
	global_load_dwordx2 v[3:4], v[1:2], off
.LBB5_9:
	s_or_b32 exec_lo, exec_lo, s0
	v_or_b32_e32 v5, 0x100, v0
	v_cmp_gt_u32_e32 vcc_lo, s34, v5
                                        ; implicit-def: $vgpr5_vgpr6
	s_and_saveexec_b32 s1, vcc_lo
	s_cbranch_execz .LBB5_11
; %bb.10:
	v_add_co_u32 v5, s0, 0x800, v1
	v_add_co_ci_u32_e64 v6, s0, 0, v2, s0
	global_load_dwordx2 v[5:6], v[5:6], off
.LBB5_11:
	s_or_b32 exec_lo, exec_lo, s1
	v_or_b32_e32 v7, 0x200, v0
	v_cmp_gt_u32_e64 s0, s34, v7
                                        ; implicit-def: $vgpr7_vgpr8
	s_and_saveexec_b32 s2, s0
	s_cbranch_execz .LBB5_13
; %bb.12:
	v_add_co_u32 v7, s1, 0x1000, v1
	v_add_co_ci_u32_e64 v8, s1, 0, v2, s1
	global_load_dwordx2 v[7:8], v[7:8], off
.LBB5_13:
	s_or_b32 exec_lo, exec_lo, s2
	v_or_b32_e32 v9, 0x300, v0
	v_cmp_gt_u32_e64 s1, s34, v9
                                        ; implicit-def: $vgpr9_vgpr10
	s_and_saveexec_b32 s3, s1
	s_cbranch_execz .LBB5_15
; %bb.14:
	v_add_co_u32 v9, s2, 0x1800, v1
	v_add_co_ci_u32_e64 v10, s2, 0, v2, s2
	global_load_dwordx2 v[9:10], v[9:10], off
.LBB5_15:
	s_or_b32 exec_lo, exec_lo, s3
	v_or_b32_e32 v11, 0x400, v0
	v_cmp_gt_u32_e64 s2, s34, v11
                                        ; implicit-def: $vgpr11_vgpr12
	s_and_saveexec_b32 s4, s2
	s_cbranch_execz .LBB5_17
; %bb.16:
	v_add_co_u32 v11, s3, 0x2000, v1
	v_add_co_ci_u32_e64 v12, s3, 0, v2, s3
	global_load_dwordx2 v[11:12], v[11:12], off
.LBB5_17:
	s_or_b32 exec_lo, exec_lo, s4
	v_or_b32_e32 v13, 0x500, v0
	v_cmp_gt_u32_e64 s3, s34, v13
                                        ; implicit-def: $vgpr13_vgpr14
	s_and_saveexec_b32 s5, s3
	s_cbranch_execz .LBB5_19
; %bb.18:
	v_add_co_u32 v13, s4, 0x2800, v1
	v_add_co_ci_u32_e64 v14, s4, 0, v2, s4
	global_load_dwordx2 v[13:14], v[13:14], off
.LBB5_19:
	s_or_b32 exec_lo, exec_lo, s5
	v_or_b32_e32 v15, 0x600, v0
	v_cmp_gt_u32_e64 s4, s34, v15
                                        ; implicit-def: $vgpr15_vgpr16
	s_and_saveexec_b32 s8, s4
	s_cbranch_execz .LBB5_21
; %bb.20:
	v_add_co_u32 v15, s5, 0x3000, v1
	v_add_co_ci_u32_e64 v16, s5, 0, v2, s5
	global_load_dwordx2 v[15:16], v[15:16], off
.LBB5_21:
	s_or_b32 exec_lo, exec_lo, s8
	v_or_b32_e32 v17, 0x700, v0
	v_cmp_gt_u32_e64 s5, s34, v17
                                        ; implicit-def: $vgpr17_vgpr18
	s_and_saveexec_b32 s9, s5
	s_cbranch_execz .LBB5_23
; %bb.22:
	v_add_co_u32 v17, s8, 0x3800, v1
	v_add_co_ci_u32_e64 v18, s8, 0, v2, s8
	global_load_dwordx2 v[17:18], v[17:18], off
.LBB5_23:
	s_or_b32 exec_lo, exec_lo, s9
	v_or_b32_e32 v19, 0x800, v0
	v_cmp_gt_u32_e64 s8, s34, v19
                                        ; implicit-def: $vgpr19_vgpr20
	s_and_saveexec_b32 s10, s8
	s_cbranch_execz .LBB5_25
; %bb.24:
	v_add_co_u32 v19, s9, 0x4000, v1
	v_add_co_ci_u32_e64 v20, s9, 0, v2, s9
	global_load_dwordx2 v[19:20], v[19:20], off
.LBB5_25:
	s_or_b32 exec_lo, exec_lo, s10
	v_or_b32_e32 v21, 0x900, v0
	v_cmp_gt_u32_e64 s9, s34, v21
                                        ; implicit-def: $vgpr21_vgpr22
	s_and_saveexec_b32 s11, s9
	s_cbranch_execz .LBB5_27
; %bb.26:
	v_add_co_u32 v21, s10, 0x4800, v1
	v_add_co_ci_u32_e64 v22, s10, 0, v2, s10
	global_load_dwordx2 v[21:22], v[21:22], off
.LBB5_27:
	s_or_b32 exec_lo, exec_lo, s11
	v_or_b32_e32 v23, 0xa00, v0
	v_cmp_gt_u32_e64 s10, s34, v23
                                        ; implicit-def: $vgpr23_vgpr24
	s_and_saveexec_b32 s12, s10
	s_cbranch_execz .LBB5_29
; %bb.28:
	v_add_co_u32 v23, s11, 0x5000, v1
	v_add_co_ci_u32_e64 v24, s11, 0, v2, s11
	global_load_dwordx2 v[23:24], v[23:24], off
.LBB5_29:
	s_or_b32 exec_lo, exec_lo, s12
	v_or_b32_e32 v25, 0xb00, v0
	v_cmp_gt_u32_e64 s11, s34, v25
                                        ; implicit-def: $vgpr25_vgpr26
	s_and_saveexec_b32 s13, s11
	s_cbranch_execz .LBB5_31
; %bb.30:
	v_add_co_u32 v25, s12, 0x5800, v1
	v_add_co_ci_u32_e64 v26, s12, 0, v2, s12
	global_load_dwordx2 v[25:26], v[25:26], off
.LBB5_31:
	s_or_b32 exec_lo, exec_lo, s13
	v_or_b32_e32 v27, 0xc00, v0
	v_cmp_gt_u32_e64 s12, s34, v27
                                        ; implicit-def: $vgpr27_vgpr28
	s_and_saveexec_b32 s14, s12
	s_cbranch_execz .LBB5_33
; %bb.32:
	v_add_co_u32 v27, s13, 0x6000, v1
	v_add_co_ci_u32_e64 v28, s13, 0, v2, s13
	global_load_dwordx2 v[27:28], v[27:28], off
.LBB5_33:
	s_or_b32 exec_lo, exec_lo, s14
	v_or_b32_e32 v29, 0xd00, v0
	v_cmp_gt_u32_e64 s13, s34, v29
                                        ; implicit-def: $vgpr29_vgpr30
	s_and_saveexec_b32 s15, s13
	s_cbranch_execz .LBB5_35
; %bb.34:
	v_add_co_u32 v29, s14, 0x6800, v1
	v_add_co_ci_u32_e64 v30, s14, 0, v2, s14
	global_load_dwordx2 v[29:30], v[29:30], off
.LBB5_35:
	s_or_b32 exec_lo, exec_lo, s15
	v_or_b32_e32 v31, 0xe00, v0
	v_cmp_gt_u32_e64 s14, s34, v31
                                        ; implicit-def: $vgpr31_vgpr32
	s_and_saveexec_b32 s16, s14
	s_cbranch_execz .LBB5_37
; %bb.36:
	v_add_co_u32 v31, s15, 0x7000, v1
	v_add_co_ci_u32_e64 v32, s15, 0, v2, s15
	global_load_dwordx2 v[31:32], v[31:32], off
.LBB5_37:
	s_or_b32 exec_lo, exec_lo, s16
	v_or_b32_e32 v33, 0xf00, v0
	v_cmp_gt_u32_e64 s15, s34, v33
                                        ; implicit-def: $vgpr33_vgpr34
	s_and_saveexec_b32 s17, s15
	s_cbranch_execz .LBB5_39
; %bb.38:
	v_add_co_u32 v33, s16, 0x7800, v1
	v_add_co_ci_u32_e64 v34, s16, 0, v2, s16
	global_load_dwordx2 v[33:34], v[33:34], off
.LBB5_39:
	s_or_b32 exec_lo, exec_lo, s17
	v_or_b32_e32 v35, 0x1000, v0
	v_cmp_gt_u32_e64 s16, s34, v35
                                        ; implicit-def: $vgpr35_vgpr36
	s_and_saveexec_b32 s18, s16
	s_cbranch_execz .LBB5_41
; %bb.40:
	v_add_co_u32 v35, s17, 0x8000, v1
	v_add_co_ci_u32_e64 v36, s17, 0, v2, s17
	global_load_dwordx2 v[35:36], v[35:36], off
.LBB5_41:
	s_or_b32 exec_lo, exec_lo, s18
	v_or_b32_e32 v37, 0x1100, v0
	v_cmp_gt_u32_e64 s17, s34, v37
                                        ; implicit-def: $vgpr37_vgpr38
	s_and_saveexec_b32 s19, s17
	s_cbranch_execz .LBB5_43
; %bb.42:
	v_add_co_u32 v37, s18, 0x8800, v1
	v_add_co_ci_u32_e64 v38, s18, 0, v2, s18
	global_load_dwordx2 v[37:38], v[37:38], off
.LBB5_43:
	s_or_b32 exec_lo, exec_lo, s19
	v_or_b32_e32 v39, 0x1200, v0
	v_cmp_gt_u32_e64 s18, s34, v39
                                        ; implicit-def: $vgpr39_vgpr40
	s_and_saveexec_b32 s20, s18
	s_cbranch_execz .LBB5_45
; %bb.44:
	v_add_co_u32 v39, s19, 0x9000, v1
	v_add_co_ci_u32_e64 v40, s19, 0, v2, s19
	global_load_dwordx2 v[39:40], v[39:40], off
.LBB5_45:
	s_or_b32 exec_lo, exec_lo, s20
	v_or_b32_e32 v41, 0x1300, v0
	v_cmp_gt_u32_e64 s19, s34, v41
                                        ; implicit-def: $vgpr41_vgpr42
	s_and_saveexec_b32 s21, s19
	s_cbranch_execz .LBB5_47
; %bb.46:
	v_add_co_u32 v41, s20, 0x9800, v1
	v_add_co_ci_u32_e64 v42, s20, 0, v2, s20
	global_load_dwordx2 v[41:42], v[41:42], off
.LBB5_47:
	s_or_b32 exec_lo, exec_lo, s21
	v_or_b32_e32 v43, 0x1400, v0
	v_cmp_gt_u32_e64 s20, s34, v43
                                        ; implicit-def: $vgpr43_vgpr44
	s_and_saveexec_b32 s22, s20
	s_cbranch_execz .LBB5_49
; %bb.48:
	v_add_co_u32 v43, s21, 0xa000, v1
	v_add_co_ci_u32_e64 v44, s21, 0, v2, s21
	global_load_dwordx2 v[43:44], v[43:44], off
.LBB5_49:
	s_or_b32 exec_lo, exec_lo, s22
	v_or_b32_e32 v45, 0x1500, v0
	v_cmp_gt_u32_e64 s21, s34, v45
                                        ; implicit-def: $vgpr45_vgpr46
	s_and_saveexec_b32 s23, s21
	s_cbranch_execz .LBB5_51
; %bb.50:
	v_add_co_u32 v45, s22, 0xa800, v1
	v_add_co_ci_u32_e64 v46, s22, 0, v2, s22
	global_load_dwordx2 v[45:46], v[45:46], off
.LBB5_51:
	s_or_b32 exec_lo, exec_lo, s23
	v_or_b32_e32 v47, 0x1600, v0
	v_cmp_gt_u32_e64 s22, s34, v47
                                        ; implicit-def: $vgpr47_vgpr48
	s_and_saveexec_b32 s24, s22
	s_cbranch_execz .LBB5_53
; %bb.52:
	v_add_co_u32 v47, s23, 0xb000, v1
	v_add_co_ci_u32_e64 v48, s23, 0, v2, s23
	global_load_dwordx2 v[47:48], v[47:48], off
.LBB5_53:
	s_or_b32 exec_lo, exec_lo, s24
	v_or_b32_e32 v49, 0x1700, v0
	v_cmp_gt_u32_e64 s23, s34, v49
                                        ; implicit-def: $vgpr49_vgpr50
	s_and_saveexec_b32 s25, s23
	s_cbranch_execz .LBB5_55
; %bb.54:
	v_add_co_u32 v49, s24, 0xb800, v1
	v_add_co_ci_u32_e64 v50, s24, 0, v2, s24
	global_load_dwordx2 v[49:50], v[49:50], off
.LBB5_55:
	s_or_b32 exec_lo, exec_lo, s25
	v_or_b32_e32 v51, 0x1800, v0
	v_cmp_gt_u32_e64 s24, s34, v51
                                        ; implicit-def: $vgpr51_vgpr52
	s_and_saveexec_b32 s26, s24
	s_cbranch_execz .LBB5_57
; %bb.56:
	v_add_co_u32 v51, s25, 0xc000, v1
	v_add_co_ci_u32_e64 v52, s25, 0, v2, s25
	global_load_dwordx2 v[51:52], v[51:52], off
.LBB5_57:
	s_or_b32 exec_lo, exec_lo, s26
	v_or_b32_e32 v53, 0x1900, v0
	v_cmp_gt_u32_e64 s25, s34, v53
                                        ; implicit-def: $vgpr53_vgpr54
	s_and_saveexec_b32 s27, s25
	s_cbranch_execz .LBB5_59
; %bb.58:
	v_add_co_u32 v53, s26, 0xc800, v1
	v_add_co_ci_u32_e64 v54, s26, 0, v2, s26
	global_load_dwordx2 v[53:54], v[53:54], off
.LBB5_59:
	s_or_b32 exec_lo, exec_lo, s27
	v_or_b32_e32 v55, 0x1a00, v0
	v_cmp_gt_u32_e64 s26, s34, v55
                                        ; implicit-def: $vgpr55_vgpr56
	s_and_saveexec_b32 s28, s26
	s_cbranch_execz .LBB5_61
; %bb.60:
	v_add_co_u32 v55, s27, 0xd000, v1
	v_add_co_ci_u32_e64 v56, s27, 0, v2, s27
	global_load_dwordx2 v[55:56], v[55:56], off
.LBB5_61:
	s_or_b32 exec_lo, exec_lo, s28
	v_or_b32_e32 v57, 0x1b00, v0
	v_cmp_gt_u32_e64 s27, s34, v57
                                        ; implicit-def: $vgpr57_vgpr58
	s_and_saveexec_b32 s29, s27
	s_cbranch_execz .LBB5_63
; %bb.62:
	v_add_co_u32 v57, s28, 0xd800, v1
	v_add_co_ci_u32_e64 v58, s28, 0, v2, s28
	global_load_dwordx2 v[57:58], v[57:58], off
.LBB5_63:
	s_or_b32 exec_lo, exec_lo, s29
	v_or_b32_e32 v59, 0x1c00, v0
	v_cmp_gt_u32_e64 s28, s34, v59
                                        ; implicit-def: $vgpr59_vgpr60
	s_and_saveexec_b32 s30, s28
	s_cbranch_execz .LBB5_65
; %bb.64:
	v_add_co_u32 v59, s29, 0xe000, v1
	v_add_co_ci_u32_e64 v60, s29, 0, v2, s29
	global_load_dwordx2 v[59:60], v[59:60], off
.LBB5_65:
	s_or_b32 exec_lo, exec_lo, s30
	v_or_b32_e32 v61, 0x1d00, v0
	v_cmp_gt_u32_e64 s29, s34, v61
                                        ; implicit-def: $vgpr61_vgpr62
	s_and_saveexec_b32 s31, s29
	s_cbranch_execz .LBB5_67
; %bb.66:
	v_add_co_u32 v61, s30, 0xe800, v1
	v_add_co_ci_u32_e64 v62, s30, 0, v2, s30
	global_load_dwordx2 v[61:62], v[61:62], off
.LBB5_67:
	s_or_b32 exec_lo, exec_lo, s31
	v_or_b32_e32 v63, 0x1e00, v0
	v_cmp_gt_u32_e64 s30, s34, v63
                                        ; implicit-def: $vgpr63_vgpr64
	s_and_saveexec_b32 s33, s30
	s_cbranch_execz .LBB5_69
; %bb.68:
	v_add_co_u32 v63, s31, 0xf000, v1
	v_add_co_ci_u32_e64 v64, s31, 0, v2, s31
	global_load_dwordx2 v[63:64], v[63:64], off
.LBB5_69:
	s_or_b32 exec_lo, exec_lo, s33
	v_or_b32_e32 v65, 0x1f00, v0
	v_cmp_gt_u32_e64 s31, s34, v65
                                        ; implicit-def: $vgpr65_vgpr66
	s_and_saveexec_b32 s35, s31
	s_cbranch_execz .LBB5_71
; %bb.70:
	v_add_co_u32 v1, s33, 0xf800, v1
	v_add_co_ci_u32_e64 v2, s33, 0, v2, s33
	global_load_dwordx2 v[65:66], v[1:2], off
.LBB5_71:
	s_or_b32 exec_lo, exec_lo, s35
	s_waitcnt vmcnt(0)
	v_add_f64 v[1:2], v[3:4], v[5:6]
	v_add_nc_u32_e32 v6, 1, v67
	v_cndmask_b32_e32 v2, v4, v2, vcc_lo
	v_cndmask_b32_e32 v1, v3, v1, vcc_lo
	v_cmp_ne_u32_e32 vcc_lo, 31, v67
	v_add_f64 v[3:4], v[1:2], v[7:8]
	v_add_co_ci_u32_e32 v5, vcc_lo, 0, v67, vcc_lo
	v_lshlrev_b32_e32 v5, 2, v5
	v_cndmask_b32_e64 v2, v2, v4, s0
	v_cndmask_b32_e64 v1, v1, v3, s0
	s_min_u32 s0, s34, 0x100
	v_add_f64 v[3:4], v[1:2], v[9:10]
	v_cndmask_b32_e64 v2, v2, v4, s1
	v_cndmask_b32_e64 v1, v1, v3, s1
	s_mov_b32 s1, exec_lo
	v_add_f64 v[3:4], v[1:2], v[11:12]
	v_cndmask_b32_e64 v2, v2, v4, s2
	v_cndmask_b32_e64 v1, v1, v3, s2
	v_add_f64 v[3:4], v[1:2], v[13:14]
	v_cndmask_b32_e64 v2, v2, v4, s3
	v_cndmask_b32_e64 v1, v1, v3, s3
	v_add_f64 v[3:4], v[1:2], v[15:16]
	v_cndmask_b32_e64 v2, v2, v4, s4
	v_cndmask_b32_e64 v1, v1, v3, s4
	v_add_f64 v[3:4], v[1:2], v[17:18]
	v_cndmask_b32_e64 v2, v2, v4, s5
	v_cndmask_b32_e64 v1, v1, v3, s5
	v_add_f64 v[3:4], v[1:2], v[19:20]
	v_cndmask_b32_e64 v2, v2, v4, s8
	v_cndmask_b32_e64 v1, v1, v3, s8
	v_add_f64 v[3:4], v[1:2], v[21:22]
	v_cndmask_b32_e64 v2, v2, v4, s9
	v_cndmask_b32_e64 v1, v1, v3, s9
	v_add_f64 v[3:4], v[1:2], v[23:24]
	v_cndmask_b32_e64 v2, v2, v4, s10
	v_cndmask_b32_e64 v1, v1, v3, s10
	v_add_f64 v[3:4], v[1:2], v[25:26]
	v_cndmask_b32_e64 v2, v2, v4, s11
	v_cndmask_b32_e64 v1, v1, v3, s11
	v_add_f64 v[3:4], v[1:2], v[27:28]
	v_cndmask_b32_e64 v2, v2, v4, s12
	v_cndmask_b32_e64 v1, v1, v3, s12
	v_add_f64 v[3:4], v[1:2], v[29:30]
	v_cndmask_b32_e64 v2, v2, v4, s13
	v_cndmask_b32_e64 v1, v1, v3, s13
	v_add_f64 v[3:4], v[1:2], v[31:32]
	v_cndmask_b32_e64 v2, v2, v4, s14
	v_cndmask_b32_e64 v1, v1, v3, s14
	v_add_f64 v[3:4], v[1:2], v[33:34]
	v_cndmask_b32_e64 v2, v2, v4, s15
	v_cndmask_b32_e64 v1, v1, v3, s15
	v_add_f64 v[3:4], v[1:2], v[35:36]
	v_cndmask_b32_e64 v2, v2, v4, s16
	v_cndmask_b32_e64 v1, v1, v3, s16
	v_add_f64 v[3:4], v[1:2], v[37:38]
	v_cndmask_b32_e64 v2, v2, v4, s17
	v_cndmask_b32_e64 v1, v1, v3, s17
	v_add_f64 v[3:4], v[1:2], v[39:40]
	v_cndmask_b32_e64 v2, v2, v4, s18
	v_cndmask_b32_e64 v1, v1, v3, s18
	v_add_f64 v[3:4], v[1:2], v[41:42]
	v_cndmask_b32_e64 v2, v2, v4, s19
	v_cndmask_b32_e64 v1, v1, v3, s19
	v_add_f64 v[3:4], v[1:2], v[43:44]
	v_cndmask_b32_e64 v2, v2, v4, s20
	v_cndmask_b32_e64 v1, v1, v3, s20
	v_add_f64 v[3:4], v[1:2], v[45:46]
	v_cndmask_b32_e64 v2, v2, v4, s21
	v_cndmask_b32_e64 v1, v1, v3, s21
	v_add_f64 v[3:4], v[1:2], v[47:48]
	v_cndmask_b32_e64 v2, v2, v4, s22
	v_cndmask_b32_e64 v1, v1, v3, s22
	v_add_f64 v[3:4], v[1:2], v[49:50]
	v_cndmask_b32_e64 v2, v2, v4, s23
	v_cndmask_b32_e64 v1, v1, v3, s23
	v_add_f64 v[3:4], v[1:2], v[51:52]
	v_cndmask_b32_e64 v2, v2, v4, s24
	v_cndmask_b32_e64 v1, v1, v3, s24
	v_add_f64 v[3:4], v[1:2], v[53:54]
	v_cndmask_b32_e64 v2, v2, v4, s25
	v_cndmask_b32_e64 v1, v1, v3, s25
	v_add_f64 v[3:4], v[1:2], v[55:56]
	v_cndmask_b32_e64 v2, v2, v4, s26
	v_cndmask_b32_e64 v1, v1, v3, s26
	v_add_f64 v[3:4], v[1:2], v[57:58]
	v_cndmask_b32_e64 v2, v2, v4, s27
	v_cndmask_b32_e64 v1, v1, v3, s27
	v_add_f64 v[3:4], v[1:2], v[59:60]
	v_cndmask_b32_e64 v2, v2, v4, s28
	v_cndmask_b32_e64 v1, v1, v3, s28
	v_add_f64 v[3:4], v[1:2], v[61:62]
	v_cndmask_b32_e64 v2, v2, v4, s29
	v_cndmask_b32_e64 v1, v1, v3, s29
	v_add_f64 v[3:4], v[1:2], v[63:64]
	v_cndmask_b32_e64 v2, v2, v4, s30
	v_cndmask_b32_e64 v1, v1, v3, s30
	v_add_f64 v[3:4], v[1:2], v[65:66]
	v_cndmask_b32_e64 v3, v1, v3, s31
	v_cndmask_b32_e64 v4, v2, v4, s31
	ds_bpermute_b32 v1, v5, v3
	ds_bpermute_b32 v2, v5, v4
	v_and_b32_e32 v5, 0xe0, v0
	v_sub_nc_u32_e64 v5, s0, v5 clamp
	v_cmpx_lt_u32_e64 v6, v5
	s_cbranch_execz .LBB5_73
; %bb.72:
	s_waitcnt lgkmcnt(0)
	v_add_f64 v[3:4], v[3:4], v[1:2]
.LBB5_73:
	s_or_b32 exec_lo, exec_lo, s1
	v_cmp_gt_u32_e32 vcc_lo, 30, v67
	v_add_nc_u32_e32 v6, 2, v67
	s_mov_b32 s1, exec_lo
	s_waitcnt lgkmcnt(1)
	v_cndmask_b32_e64 v1, 0, 1, vcc_lo
	v_lshlrev_b32_e32 v1, 1, v1
	s_waitcnt lgkmcnt(0)
	v_add_lshl_u32 v2, v1, v67, 2
	ds_bpermute_b32 v1, v2, v3
	ds_bpermute_b32 v2, v2, v4
	v_cmpx_lt_u32_e64 v6, v5
	s_cbranch_execz .LBB5_75
; %bb.74:
	s_waitcnt lgkmcnt(0)
	v_add_f64 v[3:4], v[3:4], v[1:2]
.LBB5_75:
	s_or_b32 exec_lo, exec_lo, s1
	v_cmp_gt_u32_e32 vcc_lo, 28, v67
	v_add_nc_u32_e32 v6, 4, v67
	s_mov_b32 s1, exec_lo
	s_waitcnt lgkmcnt(1)
	v_cndmask_b32_e64 v1, 0, 1, vcc_lo
	v_lshlrev_b32_e32 v1, 2, v1
	s_waitcnt lgkmcnt(0)
	v_add_lshl_u32 v2, v1, v67, 2
	ds_bpermute_b32 v1, v2, v3
	ds_bpermute_b32 v2, v2, v4
	;; [unrolled: 17-line block ×4, first 2 shown]
	v_cmpx_lt_u32_e64 v6, v5
	s_cbranch_execz .LBB5_81
; %bb.80:
	s_waitcnt lgkmcnt(0)
	v_add_f64 v[3:4], v[3:4], v[1:2]
.LBB5_81:
	s_or_b32 exec_lo, exec_lo, s1
	s_mov_b32 s1, exec_lo
	v_cmpx_eq_u32_e32 0, v67
	s_cbranch_execz .LBB5_83
; %bb.82:
	s_waitcnt lgkmcnt(1)
	v_lshrrev_b32_e32 v1, 2, v0
	v_and_b32_e32 v1, 56, v1
	ds_write_b64 v1, v[3:4] offset:64
.LBB5_83:
	s_or_b32 exec_lo, exec_lo, s1
	s_mov_b32 s1, exec_lo
	s_waitcnt lgkmcnt(0)
	s_barrier
	buffer_gl0_inv
	v_cmpx_gt_u32_e32 8, v0
	s_cbranch_execz .LBB5_91
; %bb.84:
	v_lshlrev_b32_e32 v1, 3, v67
	v_and_b32_e32 v5, 7, v67
	s_add_i32 s0, s0, 31
	s_mov_b32 s2, exec_lo
	s_lshr_b32 s0, s0, 5
	ds_read_b64 v[3:4], v1 offset:64
	v_cmp_ne_u32_e32 vcc_lo, 7, v5
	v_add_nc_u32_e32 v6, 1, v5
	v_add_co_ci_u32_e32 v1, vcc_lo, 0, v67, vcc_lo
	v_lshlrev_b32_e32 v2, 2, v1
	s_waitcnt lgkmcnt(0)
	ds_bpermute_b32 v1, v2, v3
	ds_bpermute_b32 v2, v2, v4
	v_cmpx_gt_u32_e64 s0, v6
	s_cbranch_execz .LBB5_86
; %bb.85:
	s_waitcnt lgkmcnt(0)
	v_add_f64 v[3:4], v[3:4], v[1:2]
.LBB5_86:
	s_or_b32 exec_lo, exec_lo, s2
	v_cmp_gt_u32_e32 vcc_lo, 6, v5
	v_add_nc_u32_e32 v6, 2, v5
	s_mov_b32 s2, exec_lo
	s_waitcnt lgkmcnt(1)
	v_cndmask_b32_e64 v1, 0, 1, vcc_lo
	v_lshlrev_b32_e32 v1, 1, v1
	s_waitcnt lgkmcnt(0)
	v_add_lshl_u32 v2, v1, v67, 2
	ds_bpermute_b32 v1, v2, v3
	ds_bpermute_b32 v2, v2, v4
	v_cmpx_gt_u32_e64 s0, v6
	s_cbranch_execz .LBB5_88
; %bb.87:
	s_waitcnt lgkmcnt(0)
	v_add_f64 v[3:4], v[3:4], v[1:2]
.LBB5_88:
	s_or_b32 exec_lo, exec_lo, s2
	v_cmp_gt_u32_e32 vcc_lo, 4, v5
	v_add_nc_u32_e32 v5, 4, v5
	s_waitcnt lgkmcnt(1)
	v_cndmask_b32_e64 v1, 0, 1, vcc_lo
	v_cmp_gt_u32_e32 vcc_lo, s0, v5
	v_lshlrev_b32_e32 v1, 2, v1
	s_waitcnt lgkmcnt(0)
	v_add_lshl_u32 v2, v1, v67, 2
	ds_bpermute_b32 v1, v2, v3
	ds_bpermute_b32 v2, v2, v4
	s_and_saveexec_b32 s0, vcc_lo
	s_cbranch_execz .LBB5_90
; %bb.89:
	s_waitcnt lgkmcnt(0)
	v_add_f64 v[3:4], v[3:4], v[1:2]
.LBB5_90:
	s_or_b32 exec_lo, exec_lo, s0
.LBB5_91:
	s_or_b32 exec_lo, exec_lo, s1
.LBB5_92:
	s_mov_b32 s0, exec_lo
	v_cmpx_eq_u32_e32 0, v0
	s_cbranch_execz .LBB5_94
; %bb.93:
	s_waitcnt lgkmcnt(1)
	v_add_f64 v[0:1], v[3:4], s[42:43]
	s_lshl_b64 s[0:1], s[6:7], 3
	s_waitcnt lgkmcnt(0)
	v_mov_b32_e32 v2, 0
	s_add_u32 s0, s40, s0
	s_addc_u32 s1, s41, s1
	s_cmp_eq_u64 s[38:39], 0
	s_cselect_b32 s2, -1, 0
	v_cndmask_b32_e64 v1, v1, s43, s2
	v_cndmask_b32_e64 v0, v0, s42, s2
	global_store_dwordx2 v2, v[0:1], s[0:1]
.LBB5_94:
	s_endpgm
	.section	.rodata,"a",@progbits
	.p2align	6, 0x0
	.amdhsa_kernel _ZN7rocprim6detail19block_reduce_kernelILb1ELb1ELj4ENS0_21wrapped_reduce_configINS_14default_configEdEEdPdS5_dN6thrust4plusIdEEEEvT4_mT5_T6_T7_
		.amdhsa_group_segment_fixed_size 128
		.amdhsa_private_segment_fixed_size 0
		.amdhsa_kernarg_size 36
		.amdhsa_user_sgpr_count 6
		.amdhsa_user_sgpr_private_segment_buffer 1
		.amdhsa_user_sgpr_dispatch_ptr 0
		.amdhsa_user_sgpr_queue_ptr 0
		.amdhsa_user_sgpr_kernarg_segment_ptr 1
		.amdhsa_user_sgpr_dispatch_id 0
		.amdhsa_user_sgpr_flat_scratch_init 0
		.amdhsa_user_sgpr_private_segment_size 0
		.amdhsa_wavefront_size32 1
		.amdhsa_uses_dynamic_stack 0
		.amdhsa_system_sgpr_private_segment_wavefront_offset 0
		.amdhsa_system_sgpr_workgroup_id_x 1
		.amdhsa_system_sgpr_workgroup_id_y 0
		.amdhsa_system_sgpr_workgroup_id_z 0
		.amdhsa_system_sgpr_workgroup_info 0
		.amdhsa_system_vgpr_workitem_id 0
		.amdhsa_next_free_vgpr 68
		.amdhsa_next_free_sgpr 44
		.amdhsa_reserve_vcc 1
		.amdhsa_reserve_flat_scratch 0
		.amdhsa_float_round_mode_32 0
		.amdhsa_float_round_mode_16_64 0
		.amdhsa_float_denorm_mode_32 3
		.amdhsa_float_denorm_mode_16_64 3
		.amdhsa_dx10_clamp 1
		.amdhsa_ieee_mode 1
		.amdhsa_fp16_overflow 0
		.amdhsa_workgroup_processor_mode 1
		.amdhsa_memory_ordered 1
		.amdhsa_forward_progress 0
		.amdhsa_shared_vgpr_count 0
		.amdhsa_exception_fp_ieee_invalid_op 0
		.amdhsa_exception_fp_denorm_src 0
		.amdhsa_exception_fp_ieee_div_zero 0
		.amdhsa_exception_fp_ieee_overflow 0
		.amdhsa_exception_fp_ieee_underflow 0
		.amdhsa_exception_fp_ieee_inexact 0
		.amdhsa_exception_int_div_zero 0
	.end_amdhsa_kernel
	.section	.text._ZN7rocprim6detail19block_reduce_kernelILb1ELb1ELj4ENS0_21wrapped_reduce_configINS_14default_configEdEEdPdS5_dN6thrust4plusIdEEEEvT4_mT5_T6_T7_,"axG",@progbits,_ZN7rocprim6detail19block_reduce_kernelILb1ELb1ELj4ENS0_21wrapped_reduce_configINS_14default_configEdEEdPdS5_dN6thrust4plusIdEEEEvT4_mT5_T6_T7_,comdat
.Lfunc_end5:
	.size	_ZN7rocprim6detail19block_reduce_kernelILb1ELb1ELj4ENS0_21wrapped_reduce_configINS_14default_configEdEEdPdS5_dN6thrust4plusIdEEEEvT4_mT5_T6_T7_, .Lfunc_end5-_ZN7rocprim6detail19block_reduce_kernelILb1ELb1ELj4ENS0_21wrapped_reduce_configINS_14default_configEdEEdPdS5_dN6thrust4plusIdEEEEvT4_mT5_T6_T7_
                                        ; -- End function
	.section	.AMDGPU.csdata,"",@progbits
; Kernel info:
; codeLenInByte = 4660
; NumSgprs: 46
; NumVgprs: 68
; ScratchSize: 0
; MemoryBound: 0
; FloatMode: 240
; IeeeMode: 1
; LDSByteSize: 128 bytes/workgroup (compile time only)
; SGPRBlocks: 5
; VGPRBlocks: 8
; NumSGPRsForWavesPerEU: 46
; NumVGPRsForWavesPerEU: 68
; Occupancy: 12
; WaveLimiterHint : 1
; COMPUTE_PGM_RSRC2:SCRATCH_EN: 0
; COMPUTE_PGM_RSRC2:USER_SGPR: 6
; COMPUTE_PGM_RSRC2:TRAP_HANDLER: 0
; COMPUTE_PGM_RSRC2:TGID_X_EN: 1
; COMPUTE_PGM_RSRC2:TGID_Y_EN: 0
; COMPUTE_PGM_RSRC2:TGID_Z_EN: 0
; COMPUTE_PGM_RSRC2:TIDIG_COMP_CNT: 0
	.section	.text._ZN7rocprim6detail19block_reduce_kernelILb1ELb1ELj8ENS0_21wrapped_reduce_configINS_14default_configEdEEdPdS5_dN6thrust4plusIdEEEEvT4_mT5_T6_T7_,"axG",@progbits,_ZN7rocprim6detail19block_reduce_kernelILb1ELb1ELj8ENS0_21wrapped_reduce_configINS_14default_configEdEEdPdS5_dN6thrust4plusIdEEEEvT4_mT5_T6_T7_,comdat
	.protected	_ZN7rocprim6detail19block_reduce_kernelILb1ELb1ELj8ENS0_21wrapped_reduce_configINS_14default_configEdEEdPdS5_dN6thrust4plusIdEEEEvT4_mT5_T6_T7_ ; -- Begin function _ZN7rocprim6detail19block_reduce_kernelILb1ELb1ELj8ENS0_21wrapped_reduce_configINS_14default_configEdEEdPdS5_dN6thrust4plusIdEEEEvT4_mT5_T6_T7_
	.globl	_ZN7rocprim6detail19block_reduce_kernelILb1ELb1ELj8ENS0_21wrapped_reduce_configINS_14default_configEdEEdPdS5_dN6thrust4plusIdEEEEvT4_mT5_T6_T7_
	.p2align	8
	.type	_ZN7rocprim6detail19block_reduce_kernelILb1ELb1ELj8ENS0_21wrapped_reduce_configINS_14default_configEdEEdPdS5_dN6thrust4plusIdEEEEvT4_mT5_T6_T7_,@function
_ZN7rocprim6detail19block_reduce_kernelILb1ELb1ELj8ENS0_21wrapped_reduce_configINS_14default_configEdEEdPdS5_dN6thrust4plusIdEEEEvT4_mT5_T6_T7_: ; @_ZN7rocprim6detail19block_reduce_kernelILb1ELb1ELj8ENS0_21wrapped_reduce_configINS_14default_configEdEEdPdS5_dN6thrust4plusIdEEEEvT4_mT5_T6_T7_
; %bb.0:
	s_load_dwordx8 s[64:71], s[4:5], 0x0
	s_mov_b32 s1, 0
	s_lshl_b32 s0, s6, 14
	v_lshlrev_b32_e32 v1, 3, v0
	s_lshl_b64 s[2:3], s[0:1], 3
	s_mov_b32 s7, s1
	v_mbcnt_lo_u32_b32 v131, -1, 0
	s_waitcnt lgkmcnt(0)
	s_lshr_b64 s[4:5], s[66:67], 14
	s_add_u32 s1, s64, s2
	s_addc_u32 s2, s65, s3
	v_add_co_u32 v1, s1, s1, v1
	v_add_co_ci_u32_e64 v2, null, s2, 0, s1
	s_cmp_lg_u64 s[4:5], s[6:7]
	s_cbranch_scc0 .LBB6_6
; %bb.1:
	v_add_co_u32 v3, vcc_lo, v1, 0x1000
	v_add_co_ci_u32_e32 v4, vcc_lo, 0, v2, vcc_lo
	v_add_co_u32 v9, vcc_lo, v1, 0x2000
	s_clause 0x2
	global_load_dwordx2 v[5:6], v[1:2], off
	global_load_dwordx2 v[7:8], v[3:4], off offset:-2048
	global_load_dwordx2 v[3:4], v[3:4], off
	v_add_co_ci_u32_e32 v10, vcc_lo, 0, v2, vcc_lo
	v_add_co_u32 v13, vcc_lo, v1, 0x3000
	s_clause 0x1
	global_load_dwordx2 v[11:12], v[9:10], off offset:-2048
	global_load_dwordx2 v[9:10], v[9:10], off
	v_add_co_ci_u32_e32 v14, vcc_lo, 0, v2, vcc_lo
	s_clause 0x1
	global_load_dwordx2 v[15:16], v[13:14], off offset:-2048
	global_load_dwordx2 v[13:14], v[13:14], off
	v_add_co_u32 v17, vcc_lo, v1, 0x4000
	v_add_co_ci_u32_e32 v18, vcc_lo, 0, v2, vcc_lo
	s_clause 0x1
	global_load_dwordx2 v[19:20], v[17:18], off offset:-2048
	global_load_dwordx2 v[17:18], v[17:18], off
	v_add_co_u32 v21, vcc_lo, v1, 0x5000
	;; [unrolled: 5-line block ×5, first 2 shown]
	v_add_co_ci_u32_e32 v34, vcc_lo, 0, v2, vcc_lo
	v_add_co_u32 v37, vcc_lo, 0x1f800, v1
	v_add_co_ci_u32_e32 v38, vcc_lo, 0, v2, vcc_lo
	global_load_dwordx2 v[35:36], v[33:34], off offset:-2048
	s_mov_b32 s1, exec_lo
	global_load_dwordx2 v[37:38], v[37:38], off
	s_waitcnt vmcnt(15)
	v_add_f64 v[5:6], v[5:6], v[7:8]
	global_load_dwordx2 v[7:8], v[33:34], off
	s_waitcnt vmcnt(15)
	v_add_f64 v[3:4], v[5:6], v[3:4]
	v_add_co_u32 v5, vcc_lo, v1, 0x9000
	v_add_co_ci_u32_e32 v6, vcc_lo, 0, v2, vcc_lo
	global_load_dwordx2 v[33:34], v[5:6], off offset:-2048
	s_waitcnt vmcnt(15)
	v_add_f64 v[3:4], v[3:4], v[11:12]
	s_waitcnt vmcnt(14)
	v_add_f64 v[3:4], v[3:4], v[9:10]
	v_add_co_u32 v9, vcc_lo, v1, 0xa000
	v_add_co_ci_u32_e32 v10, vcc_lo, 0, v2, vcc_lo
	global_load_dwordx2 v[11:12], v[9:10], off offset:-2048
	s_waitcnt vmcnt(14)
	v_add_f64 v[3:4], v[3:4], v[15:16]
	s_waitcnt vmcnt(13)
	v_add_f64 v[3:4], v[3:4], v[13:14]
	v_add_co_u32 v13, vcc_lo, v1, 0xb000
	v_add_co_ci_u32_e32 v14, vcc_lo, 0, v2, vcc_lo
	s_clause 0x1
	global_load_dwordx2 v[15:16], v[13:14], off offset:-2048
	global_load_dwordx2 v[13:14], v[13:14], off
	s_waitcnt vmcnt(14)
	v_add_f64 v[3:4], v[3:4], v[19:20]
	s_waitcnt vmcnt(13)
	v_add_f64 v[3:4], v[3:4], v[17:18]
	v_add_co_u32 v17, vcc_lo, v1, 0xc000
	v_add_co_ci_u32_e32 v18, vcc_lo, 0, v2, vcc_lo
	global_load_dwordx2 v[19:20], v[17:18], off offset:-2048
	s_waitcnt vmcnt(13)
	v_add_f64 v[3:4], v[3:4], v[23:24]
	s_waitcnt vmcnt(12)
	v_add_f64 v[3:4], v[3:4], v[21:22]
	v_add_co_u32 v21, vcc_lo, v1, 0xd000
	v_add_co_ci_u32_e32 v22, vcc_lo, 0, v2, vcc_lo
	global_load_dwordx2 v[23:24], v[21:22], off offset:-2048
	;; [unrolled: 7-line block ×3, first 2 shown]
	s_waitcnt vmcnt(11)
	v_add_f64 v[3:4], v[3:4], v[31:32]
	s_waitcnt vmcnt(10)
	v_add_f64 v[3:4], v[3:4], v[29:30]
	v_add_co_u32 v29, vcc_lo, v1, 0xf000
	v_add_co_ci_u32_e32 v30, vcc_lo, 0, v2, vcc_lo
	s_clause 0x3
	global_load_dwordx2 v[31:32], v[29:30], off offset:-2048
	global_load_dwordx2 v[21:22], v[21:22], off
	global_load_dwordx2 v[25:26], v[25:26], off
	global_load_dwordx2 v[29:30], v[29:30], off
	s_waitcnt vmcnt(13)
	v_add_f64 v[3:4], v[3:4], v[35:36]
	s_waitcnt vmcnt(11)
	v_add_f64 v[3:4], v[3:4], v[7:8]
	v_add_co_u32 v7, vcc_lo, v1, 0x10000
	v_add_co_ci_u32_e32 v8, vcc_lo, 0, v2, vcc_lo
	s_clause 0x3
	global_load_dwordx2 v[35:36], v[7:8], off offset:-2048
	global_load_dwordx2 v[5:6], v[5:6], off
	global_load_dwordx2 v[7:8], v[7:8], off
	;; [unrolled: 1-line block ×3, first 2 shown]
	s_waitcnt vmcnt(14)
	v_add_f64 v[3:4], v[3:4], v[33:34]
	s_waitcnt vmcnt(2)
	v_add_f64 v[3:4], v[3:4], v[5:6]
	v_add_co_u32 v5, vcc_lo, v1, 0x11000
	v_add_co_ci_u32_e32 v6, vcc_lo, 0, v2, vcc_lo
	global_load_dwordx2 v[33:34], v[5:6], off offset:-2048
	v_add_f64 v[3:4], v[3:4], v[11:12]
	s_waitcnt vmcnt(1)
	v_add_f64 v[3:4], v[3:4], v[9:10]
	v_add_co_u32 v9, vcc_lo, v1, 0x12000
	v_add_co_ci_u32_e32 v10, vcc_lo, 0, v2, vcc_lo
	global_load_dwordx2 v[11:12], v[9:10], off offset:-2048
	v_add_f64 v[3:4], v[3:4], v[15:16]
	v_add_f64 v[3:4], v[3:4], v[13:14]
	v_add_co_u32 v13, vcc_lo, v1, 0x13000
	v_add_co_ci_u32_e32 v14, vcc_lo, 0, v2, vcc_lo
	s_clause 0x1
	global_load_dwordx2 v[15:16], v[13:14], off offset:-2048
	global_load_dwordx2 v[17:18], v[17:18], off
	v_add_f64 v[3:4], v[3:4], v[19:20]
	s_waitcnt vmcnt(0)
	v_add_f64 v[3:4], v[3:4], v[17:18]
	v_add_co_u32 v17, vcc_lo, v1, 0x14000
	v_add_co_ci_u32_e32 v18, vcc_lo, 0, v2, vcc_lo
	s_clause 0x1
	global_load_dwordx2 v[19:20], v[17:18], off offset:-2048
	global_load_dwordx2 v[17:18], v[17:18], off
	v_add_f64 v[3:4], v[3:4], v[23:24]
	v_add_f64 v[3:4], v[3:4], v[21:22]
	v_add_co_u32 v21, vcc_lo, v1, 0x15000
	v_add_co_ci_u32_e32 v22, vcc_lo, 0, v2, vcc_lo
	s_clause 0x1
	global_load_dwordx2 v[23:24], v[21:22], off offset:-2048
	global_load_dwordx2 v[21:22], v[21:22], off
	v_add_f64 v[3:4], v[3:4], v[27:28]
	v_add_f64 v[3:4], v[3:4], v[25:26]
	v_add_co_u32 v25, vcc_lo, v1, 0x16000
	v_add_co_ci_u32_e32 v26, vcc_lo, 0, v2, vcc_lo
	global_load_dwordx2 v[27:28], v[25:26], off offset:-2048
	v_add_f64 v[3:4], v[3:4], v[31:32]
	v_add_f64 v[3:4], v[3:4], v[29:30]
	v_add_co_u32 v29, vcc_lo, v1, 0x17000
	v_add_co_ci_u32_e32 v30, vcc_lo, 0, v2, vcc_lo
	s_clause 0x2
	global_load_dwordx2 v[31:32], v[29:30], off offset:-2048
	global_load_dwordx2 v[25:26], v[25:26], off
	global_load_dwordx2 v[29:30], v[29:30], off
	v_add_f64 v[3:4], v[3:4], v[35:36]
	v_add_f64 v[3:4], v[3:4], v[7:8]
	v_add_co_u32 v7, vcc_lo, v1, 0x18000
	v_add_co_ci_u32_e32 v8, vcc_lo, 0, v2, vcc_lo
	s_clause 0x4
	global_load_dwordx2 v[35:36], v[7:8], off offset:-2048
	global_load_dwordx2 v[5:6], v[5:6], off
	global_load_dwordx2 v[13:14], v[13:14], off
	;; [unrolled: 1-line block ×4, first 2 shown]
	v_add_f64 v[3:4], v[3:4], v[33:34]
	s_waitcnt vmcnt(3)
	v_add_f64 v[3:4], v[3:4], v[5:6]
	v_add_co_u32 v5, vcc_lo, v1, 0x19000
	v_add_co_ci_u32_e32 v6, vcc_lo, 0, v2, vcc_lo
	s_clause 0x1
	global_load_dwordx2 v[33:34], v[5:6], off offset:-2048
	global_load_dwordx2 v[5:6], v[5:6], off
	v_add_f64 v[3:4], v[3:4], v[11:12]
	s_waitcnt vmcnt(3)
	v_add_f64 v[3:4], v[3:4], v[9:10]
	v_add_co_u32 v9, vcc_lo, v1, 0x1a000
	v_add_co_ci_u32_e32 v10, vcc_lo, 0, v2, vcc_lo
	global_load_dwordx2 v[11:12], v[9:10], off offset:-2048
	v_add_f64 v[3:4], v[3:4], v[15:16]
	v_add_f64 v[3:4], v[3:4], v[13:14]
	v_add_co_u32 v13, vcc_lo, v1, 0x1b000
	v_add_co_ci_u32_e32 v14, vcc_lo, 0, v2, vcc_lo
	global_load_dwordx2 v[15:16], v[13:14], off offset:-2048
	v_add_f64 v[3:4], v[3:4], v[19:20]
	v_add_f64 v[3:4], v[3:4], v[17:18]
	v_add_co_u32 v17, vcc_lo, v1, 0x1c000
	v_add_co_ci_u32_e32 v18, vcc_lo, 0, v2, vcc_lo
	s_clause 0x3
	global_load_dwordx2 v[19:20], v[17:18], off offset:-2048
	global_load_dwordx2 v[9:10], v[9:10], off
	global_load_dwordx2 v[13:14], v[13:14], off
	;; [unrolled: 1-line block ×3, first 2 shown]
	v_add_f64 v[3:4], v[3:4], v[23:24]
	v_add_f64 v[3:4], v[3:4], v[21:22]
	v_add_co_u32 v21, vcc_lo, v1, 0x1d000
	v_add_co_ci_u32_e32 v22, vcc_lo, 0, v2, vcc_lo
	s_clause 0x1
	global_load_dwordx2 v[23:24], v[21:22], off offset:-2048
	global_load_dwordx2 v[21:22], v[21:22], off
	v_add_f64 v[3:4], v[3:4], v[27:28]
	v_add_f64 v[3:4], v[3:4], v[25:26]
	v_add_co_u32 v25, vcc_lo, v1, 0x1e000
	v_add_co_ci_u32_e32 v26, vcc_lo, 0, v2, vcc_lo
	global_load_dwordx2 v[27:28], v[25:26], off offset:-2048
	v_add_f64 v[3:4], v[3:4], v[31:32]
	v_add_f64 v[3:4], v[3:4], v[29:30]
	v_add_co_u32 v29, vcc_lo, v1, 0x1f000
	v_add_co_ci_u32_e32 v30, vcc_lo, 0, v2, vcc_lo
	s_clause 0x2
	global_load_dwordx2 v[31:32], v[29:30], off offset:-2048
	global_load_dwordx2 v[25:26], v[25:26], off
	global_load_dwordx2 v[29:30], v[29:30], off
	v_add_f64 v[3:4], v[3:4], v[35:36]
	s_waitcnt vmcnt(14)
	v_add_f64 v[3:4], v[3:4], v[7:8]
	s_waitcnt vmcnt(13)
	;; [unrolled: 2-line block ×5, first 2 shown]
	v_add_f64 v[3:4], v[3:4], v[9:10]
	v_add_f64 v[3:4], v[3:4], v[15:16]
	s_waitcnt vmcnt(7)
	v_add_f64 v[3:4], v[3:4], v[13:14]
	v_add_f64 v[3:4], v[3:4], v[19:20]
	s_waitcnt vmcnt(6)
	v_add_f64 v[3:4], v[3:4], v[17:18]
	s_waitcnt vmcnt(5)
	;; [unrolled: 2-line block ×5, first 2 shown]
	v_add_f64 v[3:4], v[3:4], v[25:26]
	v_add_f64 v[3:4], v[3:4], v[31:32]
	s_waitcnt vmcnt(0)
	v_add_f64 v[3:4], v[3:4], v[29:30]
	v_add_f64 v[3:4], v[3:4], v[37:38]
	v_mov_b32_dpp v5, v3 quad_perm:[1,0,3,2] row_mask:0xf bank_mask:0xf
	v_mov_b32_dpp v6, v4 quad_perm:[1,0,3,2] row_mask:0xf bank_mask:0xf
	v_add_f64 v[3:4], v[3:4], v[5:6]
	v_mov_b32_dpp v5, v3 quad_perm:[2,3,0,1] row_mask:0xf bank_mask:0xf
	v_mov_b32_dpp v6, v4 quad_perm:[2,3,0,1] row_mask:0xf bank_mask:0xf
	v_add_f64 v[3:4], v[3:4], v[5:6]
	v_mov_b32_dpp v5, v3 row_ror:4 row_mask:0xf bank_mask:0xf
	v_mov_b32_dpp v6, v4 row_ror:4 row_mask:0xf bank_mask:0xf
	v_add_f64 v[3:4], v[3:4], v[5:6]
	v_mov_b32_dpp v5, v3 row_ror:8 row_mask:0xf bank_mask:0xf
	v_mov_b32_dpp v6, v4 row_ror:8 row_mask:0xf bank_mask:0xf
	v_add_f64 v[3:4], v[3:4], v[5:6]
	ds_swizzle_b32 v5, v3 offset:swizzle(BROADCAST,32,15)
	ds_swizzle_b32 v6, v4 offset:swizzle(BROADCAST,32,15)
	s_waitcnt lgkmcnt(0)
	v_add_f64 v[3:4], v[3:4], v[5:6]
	v_mov_b32_e32 v5, 0
	ds_bpermute_b32 v3, v5, v3 offset:124
	ds_bpermute_b32 v4, v5, v4 offset:124
	v_cmpx_eq_u32_e32 0, v131
	s_cbranch_execz .LBB6_3
; %bb.2:
	v_lshrrev_b32_e32 v5, 2, v0
	v_and_b32_e32 v5, 56, v5
	s_waitcnt lgkmcnt(0)
	ds_write_b64 v5, v[3:4]
.LBB6_3:
	s_or_b32 exec_lo, exec_lo, s1
	s_mov_b32 s1, exec_lo
	s_waitcnt lgkmcnt(0)
	s_barrier
	buffer_gl0_inv
	v_cmpx_gt_u32_e32 32, v0
	s_cbranch_execz .LBB6_5
; %bb.4:
	v_and_b32_e32 v7, 7, v131
	v_lshlrev_b32_e32 v3, 3, v7
	v_cmp_ne_u32_e32 vcc_lo, 7, v7
	ds_read_b64 v[3:4], v3
	v_add_co_ci_u32_e32 v5, vcc_lo, 0, v131, vcc_lo
	v_cmp_gt_u32_e32 vcc_lo, 6, v7
	v_lshlrev_b32_e32 v6, 2, v5
	s_waitcnt lgkmcnt(0)
	ds_bpermute_b32 v5, v6, v3
	ds_bpermute_b32 v6, v6, v4
	s_waitcnt lgkmcnt(0)
	v_add_f64 v[3:4], v[3:4], v[5:6]
	v_cndmask_b32_e64 v5, 0, 1, vcc_lo
	v_cmp_gt_u32_e32 vcc_lo, 4, v7
	v_lshlrev_b32_e32 v5, 1, v5
	v_add_lshl_u32 v6, v5, v131, 2
	ds_bpermute_b32 v5, v6, v3
	ds_bpermute_b32 v6, v6, v4
	s_waitcnt lgkmcnt(0)
	v_add_f64 v[3:4], v[3:4], v[5:6]
	v_cndmask_b32_e64 v5, 0, 1, vcc_lo
	v_lshlrev_b32_e32 v5, 2, v5
	v_add_lshl_u32 v6, v5, v131, 2
	ds_bpermute_b32 v5, v6, v3
	ds_bpermute_b32 v6, v6, v4
	s_waitcnt lgkmcnt(0)
	v_add_f64 v[3:4], v[3:4], v[5:6]
.LBB6_5:
	s_or_b32 exec_lo, exec_lo, s1
	s_branch .LBB6_156
.LBB6_6:
                                        ; implicit-def: $vgpr3_vgpr4
	s_cbranch_execz .LBB6_156
; %bb.7:
	s_sub_i32 s72, s66, s0
	s_mov_b32 s0, exec_lo
                                        ; implicit-def: $vgpr3_vgpr4
	v_cmpx_gt_u32_e64 s72, v0
	s_cbranch_execz .LBB6_9
; %bb.8:
	global_load_dwordx2 v[3:4], v[1:2], off
.LBB6_9:
	s_or_b32 exec_lo, exec_lo, s0
	v_or_b32_e32 v5, 0x100, v0
	v_cmp_gt_u32_e32 vcc_lo, s72, v5
                                        ; implicit-def: $vgpr5_vgpr6
	s_and_saveexec_b32 s1, vcc_lo
	s_cbranch_execz .LBB6_11
; %bb.10:
	v_add_co_u32 v5, s0, 0x800, v1
	v_add_co_ci_u32_e64 v6, s0, 0, v2, s0
	global_load_dwordx2 v[5:6], v[5:6], off
.LBB6_11:
	s_or_b32 exec_lo, exec_lo, s1
	v_or_b32_e32 v7, 0x200, v0
	v_cmp_gt_u32_e64 s0, s72, v7
                                        ; implicit-def: $vgpr7_vgpr8
	s_and_saveexec_b32 s2, s0
	s_cbranch_execz .LBB6_13
; %bb.12:
	v_add_co_u32 v7, s1, 0x1000, v1
	v_add_co_ci_u32_e64 v8, s1, 0, v2, s1
	global_load_dwordx2 v[7:8], v[7:8], off
.LBB6_13:
	s_or_b32 exec_lo, exec_lo, s2
	v_or_b32_e32 v9, 0x300, v0
	v_cmp_gt_u32_e64 s1, s72, v9
                                        ; implicit-def: $vgpr9_vgpr10
	s_and_saveexec_b32 s3, s1
	s_cbranch_execz .LBB6_15
; %bb.14:
	v_add_co_u32 v9, s2, 0x1800, v1
	v_add_co_ci_u32_e64 v10, s2, 0, v2, s2
	global_load_dwordx2 v[9:10], v[9:10], off
.LBB6_15:
	s_or_b32 exec_lo, exec_lo, s3
	v_or_b32_e32 v11, 0x400, v0
	v_cmp_gt_u32_e64 s2, s72, v11
                                        ; implicit-def: $vgpr11_vgpr12
	s_and_saveexec_b32 s4, s2
	s_cbranch_execz .LBB6_17
; %bb.16:
	v_add_co_u32 v11, s3, 0x2000, v1
	v_add_co_ci_u32_e64 v12, s3, 0, v2, s3
	global_load_dwordx2 v[11:12], v[11:12], off
.LBB6_17:
	s_or_b32 exec_lo, exec_lo, s4
	v_or_b32_e32 v13, 0x500, v0
	v_cmp_gt_u32_e64 s3, s72, v13
                                        ; implicit-def: $vgpr13_vgpr14
	s_and_saveexec_b32 s5, s3
	s_cbranch_execz .LBB6_19
; %bb.18:
	v_add_co_u32 v13, s4, 0x2800, v1
	v_add_co_ci_u32_e64 v14, s4, 0, v2, s4
	global_load_dwordx2 v[13:14], v[13:14], off
.LBB6_19:
	s_or_b32 exec_lo, exec_lo, s5
	v_or_b32_e32 v15, 0x600, v0
	v_cmp_gt_u32_e64 s4, s72, v15
                                        ; implicit-def: $vgpr15_vgpr16
	s_and_saveexec_b32 s8, s4
	s_cbranch_execz .LBB6_21
; %bb.20:
	v_add_co_u32 v15, s5, 0x3000, v1
	v_add_co_ci_u32_e64 v16, s5, 0, v2, s5
	global_load_dwordx2 v[15:16], v[15:16], off
.LBB6_21:
	s_or_b32 exec_lo, exec_lo, s8
	v_or_b32_e32 v17, 0x700, v0
	v_cmp_gt_u32_e64 s5, s72, v17
                                        ; implicit-def: $vgpr17_vgpr18
	s_and_saveexec_b32 s9, s5
	s_cbranch_execz .LBB6_23
; %bb.22:
	v_add_co_u32 v17, s8, 0x3800, v1
	v_add_co_ci_u32_e64 v18, s8, 0, v2, s8
	global_load_dwordx2 v[17:18], v[17:18], off
.LBB6_23:
	s_or_b32 exec_lo, exec_lo, s9
	v_or_b32_e32 v19, 0x800, v0
	v_cmp_gt_u32_e64 s8, s72, v19
                                        ; implicit-def: $vgpr19_vgpr20
	s_and_saveexec_b32 s10, s8
	s_cbranch_execz .LBB6_25
; %bb.24:
	v_add_co_u32 v19, s9, 0x4000, v1
	v_add_co_ci_u32_e64 v20, s9, 0, v2, s9
	global_load_dwordx2 v[19:20], v[19:20], off
.LBB6_25:
	s_or_b32 exec_lo, exec_lo, s10
	v_or_b32_e32 v21, 0x900, v0
	v_cmp_gt_u32_e64 s9, s72, v21
                                        ; implicit-def: $vgpr21_vgpr22
	s_and_saveexec_b32 s11, s9
	s_cbranch_execz .LBB6_27
; %bb.26:
	v_add_co_u32 v21, s10, 0x4800, v1
	v_add_co_ci_u32_e64 v22, s10, 0, v2, s10
	global_load_dwordx2 v[21:22], v[21:22], off
.LBB6_27:
	s_or_b32 exec_lo, exec_lo, s11
	v_or_b32_e32 v23, 0xa00, v0
	v_cmp_gt_u32_e64 s10, s72, v23
                                        ; implicit-def: $vgpr23_vgpr24
	s_and_saveexec_b32 s12, s10
	s_cbranch_execz .LBB6_29
; %bb.28:
	v_add_co_u32 v23, s11, 0x5000, v1
	v_add_co_ci_u32_e64 v24, s11, 0, v2, s11
	global_load_dwordx2 v[23:24], v[23:24], off
.LBB6_29:
	s_or_b32 exec_lo, exec_lo, s12
	v_or_b32_e32 v25, 0xb00, v0
	v_cmp_gt_u32_e64 s11, s72, v25
                                        ; implicit-def: $vgpr25_vgpr26
	s_and_saveexec_b32 s13, s11
	s_cbranch_execz .LBB6_31
; %bb.30:
	v_add_co_u32 v25, s12, 0x5800, v1
	v_add_co_ci_u32_e64 v26, s12, 0, v2, s12
	global_load_dwordx2 v[25:26], v[25:26], off
.LBB6_31:
	s_or_b32 exec_lo, exec_lo, s13
	v_or_b32_e32 v27, 0xc00, v0
	v_cmp_gt_u32_e64 s12, s72, v27
                                        ; implicit-def: $vgpr27_vgpr28
	s_and_saveexec_b32 s14, s12
	s_cbranch_execz .LBB6_33
; %bb.32:
	v_add_co_u32 v27, s13, 0x6000, v1
	v_add_co_ci_u32_e64 v28, s13, 0, v2, s13
	global_load_dwordx2 v[27:28], v[27:28], off
.LBB6_33:
	s_or_b32 exec_lo, exec_lo, s14
	v_or_b32_e32 v29, 0xd00, v0
	v_cmp_gt_u32_e64 s13, s72, v29
                                        ; implicit-def: $vgpr29_vgpr30
	s_and_saveexec_b32 s15, s13
	s_cbranch_execz .LBB6_35
; %bb.34:
	v_add_co_u32 v29, s14, 0x6800, v1
	v_add_co_ci_u32_e64 v30, s14, 0, v2, s14
	global_load_dwordx2 v[29:30], v[29:30], off
.LBB6_35:
	s_or_b32 exec_lo, exec_lo, s15
	v_or_b32_e32 v31, 0xe00, v0
	v_cmp_gt_u32_e64 s14, s72, v31
                                        ; implicit-def: $vgpr31_vgpr32
	s_and_saveexec_b32 s16, s14
	s_cbranch_execz .LBB6_37
; %bb.36:
	v_add_co_u32 v31, s15, 0x7000, v1
	v_add_co_ci_u32_e64 v32, s15, 0, v2, s15
	global_load_dwordx2 v[31:32], v[31:32], off
.LBB6_37:
	s_or_b32 exec_lo, exec_lo, s16
	v_or_b32_e32 v33, 0xf00, v0
	v_cmp_gt_u32_e64 s15, s72, v33
                                        ; implicit-def: $vgpr33_vgpr34
	s_and_saveexec_b32 s17, s15
	s_cbranch_execz .LBB6_39
; %bb.38:
	v_add_co_u32 v33, s16, 0x7800, v1
	v_add_co_ci_u32_e64 v34, s16, 0, v2, s16
	global_load_dwordx2 v[33:34], v[33:34], off
.LBB6_39:
	s_or_b32 exec_lo, exec_lo, s17
	v_or_b32_e32 v35, 0x1000, v0
	v_cmp_gt_u32_e64 s16, s72, v35
                                        ; implicit-def: $vgpr35_vgpr36
	s_and_saveexec_b32 s18, s16
	s_cbranch_execz .LBB6_41
; %bb.40:
	v_add_co_u32 v35, s17, 0x8000, v1
	v_add_co_ci_u32_e64 v36, s17, 0, v2, s17
	global_load_dwordx2 v[35:36], v[35:36], off
.LBB6_41:
	s_or_b32 exec_lo, exec_lo, s18
	v_or_b32_e32 v37, 0x1100, v0
	v_cmp_gt_u32_e64 s17, s72, v37
                                        ; implicit-def: $vgpr37_vgpr38
	s_and_saveexec_b32 s19, s17
	s_cbranch_execz .LBB6_43
; %bb.42:
	v_add_co_u32 v37, s18, 0x8800, v1
	v_add_co_ci_u32_e64 v38, s18, 0, v2, s18
	global_load_dwordx2 v[37:38], v[37:38], off
.LBB6_43:
	s_or_b32 exec_lo, exec_lo, s19
	v_or_b32_e32 v39, 0x1200, v0
	v_cmp_gt_u32_e64 s18, s72, v39
                                        ; implicit-def: $vgpr39_vgpr40
	s_and_saveexec_b32 s20, s18
	s_cbranch_execz .LBB6_45
; %bb.44:
	v_add_co_u32 v39, s19, 0x9000, v1
	v_add_co_ci_u32_e64 v40, s19, 0, v2, s19
	global_load_dwordx2 v[39:40], v[39:40], off
.LBB6_45:
	s_or_b32 exec_lo, exec_lo, s20
	v_or_b32_e32 v41, 0x1300, v0
	v_cmp_gt_u32_e64 s19, s72, v41
                                        ; implicit-def: $vgpr41_vgpr42
	s_and_saveexec_b32 s21, s19
	s_cbranch_execz .LBB6_47
; %bb.46:
	v_add_co_u32 v41, s20, 0x9800, v1
	v_add_co_ci_u32_e64 v42, s20, 0, v2, s20
	global_load_dwordx2 v[41:42], v[41:42], off
.LBB6_47:
	s_or_b32 exec_lo, exec_lo, s21
	v_or_b32_e32 v43, 0x1400, v0
	v_cmp_gt_u32_e64 s20, s72, v43
                                        ; implicit-def: $vgpr43_vgpr44
	s_and_saveexec_b32 s22, s20
	s_cbranch_execz .LBB6_49
; %bb.48:
	v_add_co_u32 v43, s21, 0xa000, v1
	v_add_co_ci_u32_e64 v44, s21, 0, v2, s21
	global_load_dwordx2 v[43:44], v[43:44], off
.LBB6_49:
	s_or_b32 exec_lo, exec_lo, s22
	v_or_b32_e32 v45, 0x1500, v0
	v_cmp_gt_u32_e64 s21, s72, v45
                                        ; implicit-def: $vgpr45_vgpr46
	s_and_saveexec_b32 s23, s21
	s_cbranch_execz .LBB6_51
; %bb.50:
	v_add_co_u32 v45, s22, 0xa800, v1
	v_add_co_ci_u32_e64 v46, s22, 0, v2, s22
	global_load_dwordx2 v[45:46], v[45:46], off
.LBB6_51:
	s_or_b32 exec_lo, exec_lo, s23
	v_or_b32_e32 v47, 0x1600, v0
	v_cmp_gt_u32_e64 s22, s72, v47
                                        ; implicit-def: $vgpr47_vgpr48
	s_and_saveexec_b32 s24, s22
	s_cbranch_execz .LBB6_53
; %bb.52:
	v_add_co_u32 v47, s23, 0xb000, v1
	v_add_co_ci_u32_e64 v48, s23, 0, v2, s23
	global_load_dwordx2 v[47:48], v[47:48], off
.LBB6_53:
	s_or_b32 exec_lo, exec_lo, s24
	v_or_b32_e32 v49, 0x1700, v0
	v_cmp_gt_u32_e64 s23, s72, v49
                                        ; implicit-def: $vgpr49_vgpr50
	s_and_saveexec_b32 s25, s23
	s_cbranch_execz .LBB6_55
; %bb.54:
	v_add_co_u32 v49, s24, 0xb800, v1
	v_add_co_ci_u32_e64 v50, s24, 0, v2, s24
	global_load_dwordx2 v[49:50], v[49:50], off
.LBB6_55:
	s_or_b32 exec_lo, exec_lo, s25
	v_or_b32_e32 v51, 0x1800, v0
	v_cmp_gt_u32_e64 s24, s72, v51
                                        ; implicit-def: $vgpr51_vgpr52
	s_and_saveexec_b32 s26, s24
	s_cbranch_execz .LBB6_57
; %bb.56:
	v_add_co_u32 v51, s25, 0xc000, v1
	v_add_co_ci_u32_e64 v52, s25, 0, v2, s25
	global_load_dwordx2 v[51:52], v[51:52], off
.LBB6_57:
	s_or_b32 exec_lo, exec_lo, s26
	v_or_b32_e32 v53, 0x1900, v0
	v_cmp_gt_u32_e64 s25, s72, v53
                                        ; implicit-def: $vgpr53_vgpr54
	s_and_saveexec_b32 s27, s25
	s_cbranch_execz .LBB6_59
; %bb.58:
	v_add_co_u32 v53, s26, 0xc800, v1
	v_add_co_ci_u32_e64 v54, s26, 0, v2, s26
	global_load_dwordx2 v[53:54], v[53:54], off
.LBB6_59:
	s_or_b32 exec_lo, exec_lo, s27
	v_or_b32_e32 v55, 0x1a00, v0
	v_cmp_gt_u32_e64 s26, s72, v55
                                        ; implicit-def: $vgpr55_vgpr56
	s_and_saveexec_b32 s28, s26
	s_cbranch_execz .LBB6_61
; %bb.60:
	v_add_co_u32 v55, s27, 0xd000, v1
	v_add_co_ci_u32_e64 v56, s27, 0, v2, s27
	global_load_dwordx2 v[55:56], v[55:56], off
.LBB6_61:
	s_or_b32 exec_lo, exec_lo, s28
	v_or_b32_e32 v57, 0x1b00, v0
	v_cmp_gt_u32_e64 s27, s72, v57
                                        ; implicit-def: $vgpr57_vgpr58
	s_and_saveexec_b32 s29, s27
	s_cbranch_execz .LBB6_63
; %bb.62:
	v_add_co_u32 v57, s28, 0xd800, v1
	v_add_co_ci_u32_e64 v58, s28, 0, v2, s28
	global_load_dwordx2 v[57:58], v[57:58], off
.LBB6_63:
	s_or_b32 exec_lo, exec_lo, s29
	v_or_b32_e32 v59, 0x1c00, v0
	v_cmp_gt_u32_e64 s28, s72, v59
                                        ; implicit-def: $vgpr59_vgpr60
	s_and_saveexec_b32 s30, s28
	s_cbranch_execz .LBB6_65
; %bb.64:
	v_add_co_u32 v59, s29, 0xe000, v1
	v_add_co_ci_u32_e64 v60, s29, 0, v2, s29
	global_load_dwordx2 v[59:60], v[59:60], off
.LBB6_65:
	s_or_b32 exec_lo, exec_lo, s30
	v_or_b32_e32 v61, 0x1d00, v0
	v_cmp_gt_u32_e64 s29, s72, v61
                                        ; implicit-def: $vgpr61_vgpr62
	s_and_saveexec_b32 s31, s29
	s_cbranch_execz .LBB6_67
; %bb.66:
	v_add_co_u32 v61, s30, 0xe800, v1
	v_add_co_ci_u32_e64 v62, s30, 0, v2, s30
	global_load_dwordx2 v[61:62], v[61:62], off
.LBB6_67:
	s_or_b32 exec_lo, exec_lo, s31
	v_or_b32_e32 v63, 0x1e00, v0
	v_cmp_gt_u32_e64 s30, s72, v63
                                        ; implicit-def: $vgpr63_vgpr64
	s_and_saveexec_b32 s33, s30
	s_cbranch_execz .LBB6_69
; %bb.68:
	v_add_co_u32 v63, s31, 0xf000, v1
	v_add_co_ci_u32_e64 v64, s31, 0, v2, s31
	global_load_dwordx2 v[63:64], v[63:64], off
.LBB6_69:
	s_or_b32 exec_lo, exec_lo, s33
	v_or_b32_e32 v65, 0x1f00, v0
	v_cmp_gt_u32_e64 s31, s72, v65
                                        ; implicit-def: $vgpr65_vgpr66
	s_and_saveexec_b32 s34, s31
	s_cbranch_execz .LBB6_71
; %bb.70:
	v_add_co_u32 v65, s33, 0xf800, v1
	v_add_co_ci_u32_e64 v66, s33, 0, v2, s33
	global_load_dwordx2 v[65:66], v[65:66], off
.LBB6_71:
	s_or_b32 exec_lo, exec_lo, s34
	v_or_b32_e32 v67, 0x2000, v0
	v_cmp_gt_u32_e64 s33, s72, v67
                                        ; implicit-def: $vgpr67_vgpr68
	s_and_saveexec_b32 s35, s33
	s_cbranch_execz .LBB6_73
; %bb.72:
	v_add_co_u32 v67, s34, 0x10000, v1
	v_add_co_ci_u32_e64 v68, s34, 0, v2, s34
	global_load_dwordx2 v[67:68], v[67:68], off
.LBB6_73:
	s_or_b32 exec_lo, exec_lo, s35
	v_or_b32_e32 v69, 0x2100, v0
	v_cmp_gt_u32_e64 s34, s72, v69
                                        ; implicit-def: $vgpr69_vgpr70
	s_and_saveexec_b32 s36, s34
	s_cbranch_execz .LBB6_75
; %bb.74:
	v_add_co_u32 v69, s35, 0x10800, v1
	v_add_co_ci_u32_e64 v70, s35, 0, v2, s35
	global_load_dwordx2 v[69:70], v[69:70], off
.LBB6_75:
	s_or_b32 exec_lo, exec_lo, s36
	v_or_b32_e32 v71, 0x2200, v0
	v_cmp_gt_u32_e64 s35, s72, v71
                                        ; implicit-def: $vgpr71_vgpr72
	s_and_saveexec_b32 s37, s35
	s_cbranch_execz .LBB6_77
; %bb.76:
	v_add_co_u32 v71, s36, 0x11000, v1
	v_add_co_ci_u32_e64 v72, s36, 0, v2, s36
	global_load_dwordx2 v[71:72], v[71:72], off
.LBB6_77:
	s_or_b32 exec_lo, exec_lo, s37
	v_or_b32_e32 v73, 0x2300, v0
	v_cmp_gt_u32_e64 s36, s72, v73
                                        ; implicit-def: $vgpr73_vgpr74
	s_and_saveexec_b32 s38, s36
	s_cbranch_execz .LBB6_79
; %bb.78:
	v_add_co_u32 v73, s37, 0x11800, v1
	v_add_co_ci_u32_e64 v74, s37, 0, v2, s37
	global_load_dwordx2 v[73:74], v[73:74], off
.LBB6_79:
	s_or_b32 exec_lo, exec_lo, s38
	v_or_b32_e32 v75, 0x2400, v0
	v_cmp_gt_u32_e64 s37, s72, v75
                                        ; implicit-def: $vgpr75_vgpr76
	s_and_saveexec_b32 s39, s37
	s_cbranch_execz .LBB6_81
; %bb.80:
	v_add_co_u32 v75, s38, 0x12000, v1
	v_add_co_ci_u32_e64 v76, s38, 0, v2, s38
	global_load_dwordx2 v[75:76], v[75:76], off
.LBB6_81:
	s_or_b32 exec_lo, exec_lo, s39
	v_or_b32_e32 v77, 0x2500, v0
	v_cmp_gt_u32_e64 s38, s72, v77
                                        ; implicit-def: $vgpr77_vgpr78
	s_and_saveexec_b32 s40, s38
	s_cbranch_execz .LBB6_83
; %bb.82:
	v_add_co_u32 v77, s39, 0x12800, v1
	v_add_co_ci_u32_e64 v78, s39, 0, v2, s39
	global_load_dwordx2 v[77:78], v[77:78], off
.LBB6_83:
	s_or_b32 exec_lo, exec_lo, s40
	v_or_b32_e32 v79, 0x2600, v0
	v_cmp_gt_u32_e64 s39, s72, v79
                                        ; implicit-def: $vgpr79_vgpr80
	s_and_saveexec_b32 s41, s39
	s_cbranch_execz .LBB6_85
; %bb.84:
	v_add_co_u32 v79, s40, 0x13000, v1
	v_add_co_ci_u32_e64 v80, s40, 0, v2, s40
	global_load_dwordx2 v[79:80], v[79:80], off
.LBB6_85:
	s_or_b32 exec_lo, exec_lo, s41
	v_or_b32_e32 v81, 0x2700, v0
	v_cmp_gt_u32_e64 s40, s72, v81
                                        ; implicit-def: $vgpr81_vgpr82
	s_and_saveexec_b32 s42, s40
	s_cbranch_execz .LBB6_87
; %bb.86:
	v_add_co_u32 v81, s41, 0x13800, v1
	v_add_co_ci_u32_e64 v82, s41, 0, v2, s41
	global_load_dwordx2 v[81:82], v[81:82], off
.LBB6_87:
	s_or_b32 exec_lo, exec_lo, s42
	v_or_b32_e32 v83, 0x2800, v0
	v_cmp_gt_u32_e64 s41, s72, v83
                                        ; implicit-def: $vgpr83_vgpr84
	s_and_saveexec_b32 s43, s41
	s_cbranch_execz .LBB6_89
; %bb.88:
	v_add_co_u32 v83, s42, 0x14000, v1
	v_add_co_ci_u32_e64 v84, s42, 0, v2, s42
	global_load_dwordx2 v[83:84], v[83:84], off
.LBB6_89:
	s_or_b32 exec_lo, exec_lo, s43
	v_or_b32_e32 v85, 0x2900, v0
	v_cmp_gt_u32_e64 s42, s72, v85
                                        ; implicit-def: $vgpr85_vgpr86
	s_and_saveexec_b32 s44, s42
	s_cbranch_execz .LBB6_91
; %bb.90:
	v_add_co_u32 v85, s43, 0x14800, v1
	v_add_co_ci_u32_e64 v86, s43, 0, v2, s43
	global_load_dwordx2 v[85:86], v[85:86], off
.LBB6_91:
	s_or_b32 exec_lo, exec_lo, s44
	v_or_b32_e32 v87, 0x2a00, v0
	v_cmp_gt_u32_e64 s43, s72, v87
                                        ; implicit-def: $vgpr87_vgpr88
	s_and_saveexec_b32 s45, s43
	s_cbranch_execz .LBB6_93
; %bb.92:
	v_add_co_u32 v87, s44, 0x15000, v1
	v_add_co_ci_u32_e64 v88, s44, 0, v2, s44
	global_load_dwordx2 v[87:88], v[87:88], off
.LBB6_93:
	s_or_b32 exec_lo, exec_lo, s45
	v_or_b32_e32 v89, 0x2b00, v0
	v_cmp_gt_u32_e64 s44, s72, v89
                                        ; implicit-def: $vgpr89_vgpr90
	s_and_saveexec_b32 s46, s44
	s_cbranch_execz .LBB6_95
; %bb.94:
	v_add_co_u32 v89, s45, 0x15800, v1
	v_add_co_ci_u32_e64 v90, s45, 0, v2, s45
	global_load_dwordx2 v[89:90], v[89:90], off
.LBB6_95:
	s_or_b32 exec_lo, exec_lo, s46
	v_or_b32_e32 v91, 0x2c00, v0
	v_cmp_gt_u32_e64 s45, s72, v91
                                        ; implicit-def: $vgpr91_vgpr92
	s_and_saveexec_b32 s47, s45
	s_cbranch_execz .LBB6_97
; %bb.96:
	v_add_co_u32 v91, s46, 0x16000, v1
	v_add_co_ci_u32_e64 v92, s46, 0, v2, s46
	global_load_dwordx2 v[91:92], v[91:92], off
.LBB6_97:
	s_or_b32 exec_lo, exec_lo, s47
	v_or_b32_e32 v93, 0x2d00, v0
	v_cmp_gt_u32_e64 s46, s72, v93
                                        ; implicit-def: $vgpr93_vgpr94
	s_and_saveexec_b32 s48, s46
	s_cbranch_execz .LBB6_99
; %bb.98:
	v_add_co_u32 v93, s47, 0x16800, v1
	v_add_co_ci_u32_e64 v94, s47, 0, v2, s47
	global_load_dwordx2 v[93:94], v[93:94], off
.LBB6_99:
	s_or_b32 exec_lo, exec_lo, s48
	v_or_b32_e32 v95, 0x2e00, v0
	v_cmp_gt_u32_e64 s47, s72, v95
                                        ; implicit-def: $vgpr95_vgpr96
	s_and_saveexec_b32 s49, s47
	s_cbranch_execz .LBB6_101
; %bb.100:
	v_add_co_u32 v95, s48, 0x17000, v1
	v_add_co_ci_u32_e64 v96, s48, 0, v2, s48
	global_load_dwordx2 v[95:96], v[95:96], off
.LBB6_101:
	s_or_b32 exec_lo, exec_lo, s49
	v_or_b32_e32 v97, 0x2f00, v0
	v_cmp_gt_u32_e64 s48, s72, v97
                                        ; implicit-def: $vgpr97_vgpr98
	s_and_saveexec_b32 s50, s48
	s_cbranch_execz .LBB6_103
; %bb.102:
	v_add_co_u32 v97, s49, 0x17800, v1
	v_add_co_ci_u32_e64 v98, s49, 0, v2, s49
	global_load_dwordx2 v[97:98], v[97:98], off
.LBB6_103:
	s_or_b32 exec_lo, exec_lo, s50
	v_or_b32_e32 v99, 0x3000, v0
	v_cmp_gt_u32_e64 s49, s72, v99
                                        ; implicit-def: $vgpr99_vgpr100
	s_and_saveexec_b32 s51, s49
	s_cbranch_execz .LBB6_105
; %bb.104:
	v_add_co_u32 v99, s50, 0x18000, v1
	v_add_co_ci_u32_e64 v100, s50, 0, v2, s50
	global_load_dwordx2 v[99:100], v[99:100], off
.LBB6_105:
	s_or_b32 exec_lo, exec_lo, s51
	v_or_b32_e32 v101, 0x3100, v0
	v_cmp_gt_u32_e64 s50, s72, v101
                                        ; implicit-def: $vgpr101_vgpr102
	s_and_saveexec_b32 s52, s50
	s_cbranch_execz .LBB6_107
; %bb.106:
	v_add_co_u32 v101, s51, 0x18800, v1
	v_add_co_ci_u32_e64 v102, s51, 0, v2, s51
	global_load_dwordx2 v[101:102], v[101:102], off
.LBB6_107:
	s_or_b32 exec_lo, exec_lo, s52
	v_or_b32_e32 v103, 0x3200, v0
	v_cmp_gt_u32_e64 s51, s72, v103
                                        ; implicit-def: $vgpr103_vgpr104
	s_and_saveexec_b32 s53, s51
	s_cbranch_execz .LBB6_109
; %bb.108:
	v_add_co_u32 v103, s52, 0x19000, v1
	v_add_co_ci_u32_e64 v104, s52, 0, v2, s52
	global_load_dwordx2 v[103:104], v[103:104], off
.LBB6_109:
	s_or_b32 exec_lo, exec_lo, s53
	v_or_b32_e32 v105, 0x3300, v0
	v_cmp_gt_u32_e64 s52, s72, v105
                                        ; implicit-def: $vgpr105_vgpr106
	s_and_saveexec_b32 s54, s52
	s_cbranch_execz .LBB6_111
; %bb.110:
	v_add_co_u32 v105, s53, 0x19800, v1
	v_add_co_ci_u32_e64 v106, s53, 0, v2, s53
	global_load_dwordx2 v[105:106], v[105:106], off
.LBB6_111:
	s_or_b32 exec_lo, exec_lo, s54
	v_or_b32_e32 v107, 0x3400, v0
	v_cmp_gt_u32_e64 s53, s72, v107
                                        ; implicit-def: $vgpr107_vgpr108
	s_and_saveexec_b32 s55, s53
	s_cbranch_execz .LBB6_113
; %bb.112:
	v_add_co_u32 v107, s54, 0x1a000, v1
	v_add_co_ci_u32_e64 v108, s54, 0, v2, s54
	global_load_dwordx2 v[107:108], v[107:108], off
.LBB6_113:
	s_or_b32 exec_lo, exec_lo, s55
	v_or_b32_e32 v109, 0x3500, v0
	v_cmp_gt_u32_e64 s54, s72, v109
                                        ; implicit-def: $vgpr109_vgpr110
	s_and_saveexec_b32 s56, s54
	s_cbranch_execz .LBB6_115
; %bb.114:
	v_add_co_u32 v109, s55, 0x1a800, v1
	v_add_co_ci_u32_e64 v110, s55, 0, v2, s55
	global_load_dwordx2 v[109:110], v[109:110], off
.LBB6_115:
	s_or_b32 exec_lo, exec_lo, s56
	v_or_b32_e32 v111, 0x3600, v0
	v_cmp_gt_u32_e64 s55, s72, v111
                                        ; implicit-def: $vgpr111_vgpr112
	s_and_saveexec_b32 s57, s55
	s_cbranch_execz .LBB6_117
; %bb.116:
	v_add_co_u32 v111, s56, 0x1b000, v1
	v_add_co_ci_u32_e64 v112, s56, 0, v2, s56
	global_load_dwordx2 v[111:112], v[111:112], off
.LBB6_117:
	s_or_b32 exec_lo, exec_lo, s57
	v_or_b32_e32 v113, 0x3700, v0
	v_cmp_gt_u32_e64 s56, s72, v113
                                        ; implicit-def: $vgpr113_vgpr114
	s_and_saveexec_b32 s58, s56
	s_cbranch_execz .LBB6_119
; %bb.118:
	v_add_co_u32 v113, s57, 0x1b800, v1
	v_add_co_ci_u32_e64 v114, s57, 0, v2, s57
	global_load_dwordx2 v[113:114], v[113:114], off
.LBB6_119:
	s_or_b32 exec_lo, exec_lo, s58
	v_or_b32_e32 v115, 0x3800, v0
	v_cmp_gt_u32_e64 s57, s72, v115
                                        ; implicit-def: $vgpr115_vgpr116
	s_and_saveexec_b32 s59, s57
	s_cbranch_execz .LBB6_121
; %bb.120:
	v_add_co_u32 v115, s58, 0x1c000, v1
	v_add_co_ci_u32_e64 v116, s58, 0, v2, s58
	global_load_dwordx2 v[115:116], v[115:116], off
.LBB6_121:
	s_or_b32 exec_lo, exec_lo, s59
	v_or_b32_e32 v117, 0x3900, v0
	v_cmp_gt_u32_e64 s58, s72, v117
                                        ; implicit-def: $vgpr117_vgpr118
	s_and_saveexec_b32 s60, s58
	s_cbranch_execz .LBB6_123
; %bb.122:
	v_add_co_u32 v117, s59, 0x1c800, v1
	v_add_co_ci_u32_e64 v118, s59, 0, v2, s59
	global_load_dwordx2 v[117:118], v[117:118], off
.LBB6_123:
	s_or_b32 exec_lo, exec_lo, s60
	v_or_b32_e32 v119, 0x3a00, v0
	v_cmp_gt_u32_e64 s59, s72, v119
                                        ; implicit-def: $vgpr119_vgpr120
	s_and_saveexec_b32 s61, s59
	s_cbranch_execz .LBB6_125
; %bb.124:
	v_add_co_u32 v119, s60, 0x1d000, v1
	v_add_co_ci_u32_e64 v120, s60, 0, v2, s60
	global_load_dwordx2 v[119:120], v[119:120], off
.LBB6_125:
	s_or_b32 exec_lo, exec_lo, s61
	v_or_b32_e32 v121, 0x3b00, v0
	v_cmp_gt_u32_e64 s60, s72, v121
                                        ; implicit-def: $vgpr121_vgpr122
	s_and_saveexec_b32 s62, s60
	s_cbranch_execz .LBB6_127
; %bb.126:
	v_add_co_u32 v121, s61, 0x1d800, v1
	v_add_co_ci_u32_e64 v122, s61, 0, v2, s61
	global_load_dwordx2 v[121:122], v[121:122], off
.LBB6_127:
	s_or_b32 exec_lo, exec_lo, s62
	v_or_b32_e32 v123, 0x3c00, v0
	v_cmp_gt_u32_e64 s61, s72, v123
                                        ; implicit-def: $vgpr123_vgpr124
	s_and_saveexec_b32 s63, s61
	s_cbranch_execz .LBB6_129
; %bb.128:
	v_add_co_u32 v123, s62, 0x1e000, v1
	v_add_co_ci_u32_e64 v124, s62, 0, v2, s62
	global_load_dwordx2 v[123:124], v[123:124], off
.LBB6_129:
	s_or_b32 exec_lo, exec_lo, s63
	v_or_b32_e32 v125, 0x3d00, v0
	v_cmp_gt_u32_e64 s62, s72, v125
                                        ; implicit-def: $vgpr125_vgpr126
	s_and_saveexec_b32 s64, s62
	s_cbranch_execz .LBB6_131
; %bb.130:
	v_add_co_u32 v125, s63, 0x1e800, v1
	v_add_co_ci_u32_e64 v126, s63, 0, v2, s63
	global_load_dwordx2 v[125:126], v[125:126], off
.LBB6_131:
	s_or_b32 exec_lo, exec_lo, s64
	v_or_b32_e32 v127, 0x3e00, v0
	v_cmp_gt_u32_e64 s63, s72, v127
                                        ; implicit-def: $vgpr127_vgpr128
	s_and_saveexec_b32 s65, s63
	s_cbranch_execz .LBB6_133
; %bb.132:
	v_add_co_u32 v127, s64, 0x1f000, v1
	v_add_co_ci_u32_e64 v128, s64, 0, v2, s64
	global_load_dwordx2 v[127:128], v[127:128], off
.LBB6_133:
	s_or_b32 exec_lo, exec_lo, s65
	v_or_b32_e32 v129, 0x3f00, v0
	v_cmp_gt_u32_e64 s64, s72, v129
                                        ; implicit-def: $vgpr129_vgpr130
	s_and_saveexec_b32 s73, s64
	s_cbranch_execz .LBB6_135
; %bb.134:
	v_add_co_u32 v1, s65, 0x1f800, v1
	v_add_co_ci_u32_e64 v2, s65, 0, v2, s65
	global_load_dwordx2 v[129:130], v[1:2], off
.LBB6_135:
	s_or_b32 exec_lo, exec_lo, s73
	s_waitcnt vmcnt(0)
	v_add_f64 v[1:2], v[3:4], v[5:6]
	v_add_nc_u32_e32 v6, 1, v131
	v_cndmask_b32_e32 v2, v4, v2, vcc_lo
	v_cndmask_b32_e32 v1, v3, v1, vcc_lo
	v_cmp_ne_u32_e32 vcc_lo, 31, v131
	v_add_f64 v[3:4], v[1:2], v[7:8]
	v_add_co_ci_u32_e32 v5, vcc_lo, 0, v131, vcc_lo
	v_lshlrev_b32_e32 v5, 2, v5
	v_cndmask_b32_e64 v2, v2, v4, s0
	v_cndmask_b32_e64 v1, v1, v3, s0
	s_min_u32 s0, s72, 0x100
	v_add_f64 v[3:4], v[1:2], v[9:10]
	v_cndmask_b32_e64 v2, v2, v4, s1
	v_cndmask_b32_e64 v1, v1, v3, s1
	s_mov_b32 s1, exec_lo
	v_add_f64 v[3:4], v[1:2], v[11:12]
	v_cndmask_b32_e64 v2, v2, v4, s2
	v_cndmask_b32_e64 v1, v1, v3, s2
	v_add_f64 v[3:4], v[1:2], v[13:14]
	v_cndmask_b32_e64 v2, v2, v4, s3
	v_cndmask_b32_e64 v1, v1, v3, s3
	;; [unrolled: 3-line block ×60, first 2 shown]
	ds_bpermute_b32 v1, v5, v3
	ds_bpermute_b32 v2, v5, v4
	v_and_b32_e32 v5, 0xe0, v0
	v_sub_nc_u32_e64 v5, s0, v5 clamp
	v_cmpx_lt_u32_e64 v6, v5
	s_cbranch_execz .LBB6_137
; %bb.136:
	s_waitcnt lgkmcnt(0)
	v_add_f64 v[3:4], v[3:4], v[1:2]
.LBB6_137:
	s_or_b32 exec_lo, exec_lo, s1
	v_cmp_gt_u32_e32 vcc_lo, 30, v131
	v_add_nc_u32_e32 v6, 2, v131
	s_mov_b32 s1, exec_lo
	s_waitcnt lgkmcnt(1)
	v_cndmask_b32_e64 v1, 0, 1, vcc_lo
	v_lshlrev_b32_e32 v1, 1, v1
	s_waitcnt lgkmcnt(0)
	v_add_lshl_u32 v2, v1, v131, 2
	ds_bpermute_b32 v1, v2, v3
	ds_bpermute_b32 v2, v2, v4
	v_cmpx_lt_u32_e64 v6, v5
	s_cbranch_execz .LBB6_139
; %bb.138:
	s_waitcnt lgkmcnt(0)
	v_add_f64 v[3:4], v[3:4], v[1:2]
.LBB6_139:
	s_or_b32 exec_lo, exec_lo, s1
	v_cmp_gt_u32_e32 vcc_lo, 28, v131
	v_add_nc_u32_e32 v6, 4, v131
	s_mov_b32 s1, exec_lo
	s_waitcnt lgkmcnt(1)
	v_cndmask_b32_e64 v1, 0, 1, vcc_lo
	v_lshlrev_b32_e32 v1, 2, v1
	s_waitcnt lgkmcnt(0)
	v_add_lshl_u32 v2, v1, v131, 2
	ds_bpermute_b32 v1, v2, v3
	ds_bpermute_b32 v2, v2, v4
	;; [unrolled: 17-line block ×4, first 2 shown]
	v_cmpx_lt_u32_e64 v6, v5
	s_cbranch_execz .LBB6_145
; %bb.144:
	s_waitcnt lgkmcnt(0)
	v_add_f64 v[3:4], v[3:4], v[1:2]
.LBB6_145:
	s_or_b32 exec_lo, exec_lo, s1
	s_mov_b32 s1, exec_lo
	v_cmpx_eq_u32_e32 0, v131
	s_cbranch_execz .LBB6_147
; %bb.146:
	s_waitcnt lgkmcnt(1)
	v_lshrrev_b32_e32 v1, 2, v0
	v_and_b32_e32 v1, 56, v1
	ds_write_b64 v1, v[3:4] offset:64
.LBB6_147:
	s_or_b32 exec_lo, exec_lo, s1
	s_mov_b32 s1, exec_lo
	s_waitcnt lgkmcnt(0)
	s_barrier
	buffer_gl0_inv
	v_cmpx_gt_u32_e32 8, v0
	s_cbranch_execz .LBB6_155
; %bb.148:
	v_lshlrev_b32_e32 v1, 3, v131
	v_and_b32_e32 v5, 7, v131
	s_add_i32 s0, s0, 31
	s_mov_b32 s2, exec_lo
	s_lshr_b32 s0, s0, 5
	ds_read_b64 v[3:4], v1 offset:64
	v_cmp_ne_u32_e32 vcc_lo, 7, v5
	v_add_nc_u32_e32 v6, 1, v5
	v_add_co_ci_u32_e32 v1, vcc_lo, 0, v131, vcc_lo
	v_lshlrev_b32_e32 v2, 2, v1
	s_waitcnt lgkmcnt(0)
	ds_bpermute_b32 v1, v2, v3
	ds_bpermute_b32 v2, v2, v4
	v_cmpx_gt_u32_e64 s0, v6
	s_cbranch_execz .LBB6_150
; %bb.149:
	s_waitcnt lgkmcnt(0)
	v_add_f64 v[3:4], v[3:4], v[1:2]
.LBB6_150:
	s_or_b32 exec_lo, exec_lo, s2
	v_cmp_gt_u32_e32 vcc_lo, 6, v5
	v_add_nc_u32_e32 v6, 2, v5
	s_mov_b32 s2, exec_lo
	s_waitcnt lgkmcnt(1)
	v_cndmask_b32_e64 v1, 0, 1, vcc_lo
	v_lshlrev_b32_e32 v1, 1, v1
	s_waitcnt lgkmcnt(0)
	v_add_lshl_u32 v2, v1, v131, 2
	ds_bpermute_b32 v1, v2, v3
	ds_bpermute_b32 v2, v2, v4
	v_cmpx_gt_u32_e64 s0, v6
	s_cbranch_execz .LBB6_152
; %bb.151:
	s_waitcnt lgkmcnt(0)
	v_add_f64 v[3:4], v[3:4], v[1:2]
.LBB6_152:
	s_or_b32 exec_lo, exec_lo, s2
	v_cmp_gt_u32_e32 vcc_lo, 4, v5
	v_add_nc_u32_e32 v5, 4, v5
	s_waitcnt lgkmcnt(1)
	v_cndmask_b32_e64 v1, 0, 1, vcc_lo
	v_cmp_gt_u32_e32 vcc_lo, s0, v5
	v_lshlrev_b32_e32 v1, 2, v1
	s_waitcnt lgkmcnt(0)
	v_add_lshl_u32 v2, v1, v131, 2
	ds_bpermute_b32 v1, v2, v3
	ds_bpermute_b32 v2, v2, v4
	s_and_saveexec_b32 s0, vcc_lo
	s_cbranch_execz .LBB6_154
; %bb.153:
	s_waitcnt lgkmcnt(0)
	v_add_f64 v[3:4], v[3:4], v[1:2]
.LBB6_154:
	s_or_b32 exec_lo, exec_lo, s0
.LBB6_155:
	s_or_b32 exec_lo, exec_lo, s1
.LBB6_156:
	s_mov_b32 s0, exec_lo
	v_cmpx_eq_u32_e32 0, v0
	s_cbranch_execz .LBB6_158
; %bb.157:
	s_waitcnt lgkmcnt(1)
	v_add_f64 v[0:1], v[3:4], s[70:71]
	s_lshl_b64 s[0:1], s[6:7], 3
	s_waitcnt lgkmcnt(0)
	v_mov_b32_e32 v2, 0
	s_add_u32 s0, s68, s0
	s_addc_u32 s1, s69, s1
	s_cmp_eq_u64 s[66:67], 0
	s_cselect_b32 s2, -1, 0
	v_cndmask_b32_e64 v1, v1, s71, s2
	v_cndmask_b32_e64 v0, v0, s70, s2
	global_store_dwordx2 v2, v[0:1], s[0:1]
.LBB6_158:
	s_endpgm
	.section	.rodata,"a",@progbits
	.p2align	6, 0x0
	.amdhsa_kernel _ZN7rocprim6detail19block_reduce_kernelILb1ELb1ELj8ENS0_21wrapped_reduce_configINS_14default_configEdEEdPdS5_dN6thrust4plusIdEEEEvT4_mT5_T6_T7_
		.amdhsa_group_segment_fixed_size 128
		.amdhsa_private_segment_fixed_size 0
		.amdhsa_kernarg_size 36
		.amdhsa_user_sgpr_count 6
		.amdhsa_user_sgpr_private_segment_buffer 1
		.amdhsa_user_sgpr_dispatch_ptr 0
		.amdhsa_user_sgpr_queue_ptr 0
		.amdhsa_user_sgpr_kernarg_segment_ptr 1
		.amdhsa_user_sgpr_dispatch_id 0
		.amdhsa_user_sgpr_flat_scratch_init 0
		.amdhsa_user_sgpr_private_segment_size 0
		.amdhsa_wavefront_size32 1
		.amdhsa_uses_dynamic_stack 0
		.amdhsa_system_sgpr_private_segment_wavefront_offset 0
		.amdhsa_system_sgpr_workgroup_id_x 1
		.amdhsa_system_sgpr_workgroup_id_y 0
		.amdhsa_system_sgpr_workgroup_id_z 0
		.amdhsa_system_sgpr_workgroup_info 0
		.amdhsa_system_vgpr_workitem_id 0
		.amdhsa_next_free_vgpr 132
		.amdhsa_next_free_sgpr 74
		.amdhsa_reserve_vcc 1
		.amdhsa_reserve_flat_scratch 0
		.amdhsa_float_round_mode_32 0
		.amdhsa_float_round_mode_16_64 0
		.amdhsa_float_denorm_mode_32 3
		.amdhsa_float_denorm_mode_16_64 3
		.amdhsa_dx10_clamp 1
		.amdhsa_ieee_mode 1
		.amdhsa_fp16_overflow 0
		.amdhsa_workgroup_processor_mode 1
		.amdhsa_memory_ordered 1
		.amdhsa_forward_progress 0
		.amdhsa_shared_vgpr_count 0
		.amdhsa_exception_fp_ieee_invalid_op 0
		.amdhsa_exception_fp_denorm_src 0
		.amdhsa_exception_fp_ieee_div_zero 0
		.amdhsa_exception_fp_ieee_overflow 0
		.amdhsa_exception_fp_ieee_underflow 0
		.amdhsa_exception_fp_ieee_inexact 0
		.amdhsa_exception_int_div_zero 0
	.end_amdhsa_kernel
	.section	.text._ZN7rocprim6detail19block_reduce_kernelILb1ELb1ELj8ENS0_21wrapped_reduce_configINS_14default_configEdEEdPdS5_dN6thrust4plusIdEEEEvT4_mT5_T6_T7_,"axG",@progbits,_ZN7rocprim6detail19block_reduce_kernelILb1ELb1ELj8ENS0_21wrapped_reduce_configINS_14default_configEdEEdPdS5_dN6thrust4plusIdEEEEvT4_mT5_T6_T7_,comdat
.Lfunc_end6:
	.size	_ZN7rocprim6detail19block_reduce_kernelILb1ELb1ELj8ENS0_21wrapped_reduce_configINS_14default_configEdEEdPdS5_dN6thrust4plusIdEEEEvT4_mT5_T6_T7_, .Lfunc_end6-_ZN7rocprim6detail19block_reduce_kernelILb1ELb1ELj8ENS0_21wrapped_reduce_configINS_14default_configEdEEdPdS5_dN6thrust4plusIdEEEEvT4_mT5_T6_T7_
                                        ; -- End function
	.section	.AMDGPU.csdata,"",@progbits
; Kernel info:
; codeLenInByte = 8092
; NumSgprs: 76
; NumVgprs: 132
; ScratchSize: 0
; MemoryBound: 0
; FloatMode: 240
; IeeeMode: 1
; LDSByteSize: 128 bytes/workgroup (compile time only)
; SGPRBlocks: 9
; VGPRBlocks: 16
; NumSGPRsForWavesPerEU: 76
; NumVGPRsForWavesPerEU: 132
; Occupancy: 7
; WaveLimiterHint : 1
; COMPUTE_PGM_RSRC2:SCRATCH_EN: 0
; COMPUTE_PGM_RSRC2:USER_SGPR: 6
; COMPUTE_PGM_RSRC2:TRAP_HANDLER: 0
; COMPUTE_PGM_RSRC2:TGID_X_EN: 1
; COMPUTE_PGM_RSRC2:TGID_Y_EN: 0
; COMPUTE_PGM_RSRC2:TGID_Z_EN: 0
; COMPUTE_PGM_RSRC2:TIDIG_COMP_CNT: 0
	.section	.text._ZN7rocprim6detail19block_reduce_kernelILb1ELb1ELj16ENS0_21wrapped_reduce_configINS_14default_configEdEEdPdS5_dN6thrust4plusIdEEEEvT4_mT5_T6_T7_,"axG",@progbits,_ZN7rocprim6detail19block_reduce_kernelILb1ELb1ELj16ENS0_21wrapped_reduce_configINS_14default_configEdEEdPdS5_dN6thrust4plusIdEEEEvT4_mT5_T6_T7_,comdat
	.protected	_ZN7rocprim6detail19block_reduce_kernelILb1ELb1ELj16ENS0_21wrapped_reduce_configINS_14default_configEdEEdPdS5_dN6thrust4plusIdEEEEvT4_mT5_T6_T7_ ; -- Begin function _ZN7rocprim6detail19block_reduce_kernelILb1ELb1ELj16ENS0_21wrapped_reduce_configINS_14default_configEdEEdPdS5_dN6thrust4plusIdEEEEvT4_mT5_T6_T7_
	.globl	_ZN7rocprim6detail19block_reduce_kernelILb1ELb1ELj16ENS0_21wrapped_reduce_configINS_14default_configEdEEdPdS5_dN6thrust4plusIdEEEEvT4_mT5_T6_T7_
	.p2align	8
	.type	_ZN7rocprim6detail19block_reduce_kernelILb1ELb1ELj16ENS0_21wrapped_reduce_configINS_14default_configEdEEdPdS5_dN6thrust4plusIdEEEEvT4_mT5_T6_T7_,@function
_ZN7rocprim6detail19block_reduce_kernelILb1ELb1ELj16ENS0_21wrapped_reduce_configINS_14default_configEdEEdPdS5_dN6thrust4plusIdEEEEvT4_mT5_T6_T7_: ; @_ZN7rocprim6detail19block_reduce_kernelILb1ELb1ELj16ENS0_21wrapped_reduce_configINS_14default_configEdEEdPdS5_dN6thrust4plusIdEEEEvT4_mT5_T6_T7_
; %bb.0:
	s_load_dwordx8 s[8:15], s[4:5], 0x0
	s_mov_b64 s[102:103], s[2:3]
	s_mov_b64 s[100:101], s[0:1]
	s_mov_b32 s1, 0
	s_add_u32 s100, s100, s7
	s_addc_u32 s101, s101, 0
	s_lshl_b32 s0, s6, 15
                                        ; implicit-def: $vgpr254 : SGPR spill to VGPR lane
	s_mov_b32 s7, s1
	s_lshl_b64 s[2:3], s[0:1], 3
	v_lshlrev_b32_e32 v1, 3, v0
	s_waitcnt lgkmcnt(0)
	s_lshr_b64 s[4:5], s[10:11], 15
	s_add_u32 s1, s8, s2
	v_writelane_b32 v254, s8, 0
	s_addc_u32 s2, s9, s3
	v_add_co_u32 v1, s1, s1, v1
	v_add_co_ci_u32_e64 v2, null, s2, 0, s1
	v_writelane_b32 v254, s9, 1
	s_cmp_lg_u64 s[4:5], s[6:7]
	v_writelane_b32 v254, s10, 2
	v_writelane_b32 v254, s11, 3
	;; [unrolled: 1-line block ×6, first 2 shown]
	s_cbranch_scc0 .LBB7_6
; %bb.1:
	v_add_co_u32 v3, vcc_lo, v1, 0x1000
	v_add_co_ci_u32_e32 v4, vcc_lo, 0, v2, vcc_lo
	v_add_co_u32 v9, vcc_lo, v1, 0x2000
	s_clause 0x2
	global_load_dwordx2 v[5:6], v[1:2], off
	global_load_dwordx2 v[7:8], v[3:4], off offset:-2048
	global_load_dwordx2 v[3:4], v[3:4], off
	v_add_co_ci_u32_e32 v10, vcc_lo, 0, v2, vcc_lo
	v_add_co_u32 v13, vcc_lo, v1, 0x3000
	s_clause 0x1
	global_load_dwordx2 v[11:12], v[9:10], off offset:-2048
	global_load_dwordx2 v[9:10], v[9:10], off
	v_add_co_ci_u32_e32 v14, vcc_lo, 0, v2, vcc_lo
	s_clause 0x1
	global_load_dwordx2 v[15:16], v[13:14], off offset:-2048
	global_load_dwordx2 v[13:14], v[13:14], off
	v_add_co_u32 v17, vcc_lo, v1, 0x4000
	v_add_co_ci_u32_e32 v18, vcc_lo, 0, v2, vcc_lo
	s_clause 0x1
	global_load_dwordx2 v[19:20], v[17:18], off offset:-2048
	global_load_dwordx2 v[17:18], v[17:18], off
	v_add_co_u32 v21, vcc_lo, v1, 0x5000
	;; [unrolled: 5-line block ×5, first 2 shown]
	v_add_co_ci_u32_e32 v34, vcc_lo, 0, v2, vcc_lo
	v_add_co_u32 v37, vcc_lo, 0x3f800, v1
	v_add_co_ci_u32_e32 v38, vcc_lo, 0, v2, vcc_lo
	global_load_dwordx2 v[35:36], v[33:34], off offset:-2048
	s_mov_b32 s1, exec_lo
	global_load_dwordx2 v[37:38], v[37:38], off
	s_waitcnt vmcnt(15)
	v_add_f64 v[5:6], v[5:6], v[7:8]
	global_load_dwordx2 v[7:8], v[33:34], off
	s_waitcnt vmcnt(15)
	v_add_f64 v[3:4], v[5:6], v[3:4]
	v_add_co_u32 v5, vcc_lo, v1, 0x9000
	v_add_co_ci_u32_e32 v6, vcc_lo, 0, v2, vcc_lo
	global_load_dwordx2 v[33:34], v[5:6], off offset:-2048
	s_waitcnt vmcnt(15)
	v_add_f64 v[3:4], v[3:4], v[11:12]
	s_waitcnt vmcnt(14)
	v_add_f64 v[3:4], v[3:4], v[9:10]
	v_add_co_u32 v9, vcc_lo, v1, 0xa000
	v_add_co_ci_u32_e32 v10, vcc_lo, 0, v2, vcc_lo
	global_load_dwordx2 v[11:12], v[9:10], off offset:-2048
	s_waitcnt vmcnt(14)
	v_add_f64 v[3:4], v[3:4], v[15:16]
	s_waitcnt vmcnt(13)
	v_add_f64 v[3:4], v[3:4], v[13:14]
	v_add_co_u32 v13, vcc_lo, v1, 0xb000
	v_add_co_ci_u32_e32 v14, vcc_lo, 0, v2, vcc_lo
	s_clause 0x1
	global_load_dwordx2 v[15:16], v[13:14], off offset:-2048
	global_load_dwordx2 v[13:14], v[13:14], off
	s_waitcnt vmcnt(14)
	v_add_f64 v[3:4], v[3:4], v[19:20]
	s_waitcnt vmcnt(13)
	v_add_f64 v[3:4], v[3:4], v[17:18]
	v_add_co_u32 v17, vcc_lo, v1, 0xc000
	v_add_co_ci_u32_e32 v18, vcc_lo, 0, v2, vcc_lo
	global_load_dwordx2 v[19:20], v[17:18], off offset:-2048
	s_waitcnt vmcnt(13)
	v_add_f64 v[3:4], v[3:4], v[23:24]
	s_waitcnt vmcnt(12)
	v_add_f64 v[3:4], v[3:4], v[21:22]
	v_add_co_u32 v21, vcc_lo, v1, 0xd000
	v_add_co_ci_u32_e32 v22, vcc_lo, 0, v2, vcc_lo
	global_load_dwordx2 v[23:24], v[21:22], off offset:-2048
	;; [unrolled: 7-line block ×3, first 2 shown]
	s_waitcnt vmcnt(11)
	v_add_f64 v[3:4], v[3:4], v[31:32]
	s_waitcnt vmcnt(10)
	v_add_f64 v[3:4], v[3:4], v[29:30]
	v_add_co_u32 v29, vcc_lo, v1, 0xf000
	v_add_co_ci_u32_e32 v30, vcc_lo, 0, v2, vcc_lo
	s_clause 0x4
	global_load_dwordx2 v[31:32], v[29:30], off offset:-2048
	global_load_dwordx2 v[17:18], v[17:18], off
	global_load_dwordx2 v[21:22], v[21:22], off
	;; [unrolled: 1-line block ×4, first 2 shown]
	s_waitcnt vmcnt(14)
	v_add_f64 v[3:4], v[3:4], v[35:36]
	s_waitcnt vmcnt(12)
	v_add_f64 v[3:4], v[3:4], v[7:8]
	v_add_co_u32 v7, vcc_lo, v1, 0x10000
	v_add_co_ci_u32_e32 v8, vcc_lo, 0, v2, vcc_lo
	s_clause 0x3
	global_load_dwordx2 v[35:36], v[7:8], off offset:-2048
	global_load_dwordx2 v[5:6], v[5:6], off
	global_load_dwordx2 v[7:8], v[7:8], off
	global_load_dwordx2 v[9:10], v[9:10], off
	s_waitcnt vmcnt(15)
	v_add_f64 v[3:4], v[3:4], v[33:34]
	s_waitcnt vmcnt(2)
	v_add_f64 v[3:4], v[3:4], v[5:6]
	v_add_co_u32 v5, vcc_lo, v1, 0x11000
	v_add_co_ci_u32_e32 v6, vcc_lo, 0, v2, vcc_lo
	global_load_dwordx2 v[33:34], v[5:6], off offset:-2048
	v_add_f64 v[3:4], v[3:4], v[11:12]
	s_waitcnt vmcnt(1)
	v_add_f64 v[3:4], v[3:4], v[9:10]
	v_add_co_u32 v9, vcc_lo, v1, 0x12000
	v_add_co_ci_u32_e32 v10, vcc_lo, 0, v2, vcc_lo
	global_load_dwordx2 v[11:12], v[9:10], off offset:-2048
	v_add_f64 v[3:4], v[3:4], v[15:16]
	v_add_f64 v[3:4], v[3:4], v[13:14]
	v_add_co_u32 v13, vcc_lo, v1, 0x13000
	v_add_co_ci_u32_e32 v14, vcc_lo, 0, v2, vcc_lo
	s_clause 0x1
	global_load_dwordx2 v[15:16], v[13:14], off offset:-2048
	global_load_dwordx2 v[13:14], v[13:14], off
	v_add_f64 v[3:4], v[3:4], v[19:20]
	v_add_f64 v[3:4], v[3:4], v[17:18]
	v_add_co_u32 v17, vcc_lo, v1, 0x14000
	v_add_co_ci_u32_e32 v18, vcc_lo, 0, v2, vcc_lo
	global_load_dwordx2 v[19:20], v[17:18], off offset:-2048
	v_add_f64 v[3:4], v[3:4], v[23:24]
	v_add_f64 v[3:4], v[3:4], v[21:22]
	v_add_co_u32 v21, vcc_lo, v1, 0x15000
	v_add_co_ci_u32_e32 v22, vcc_lo, 0, v2, vcc_lo
	global_load_dwordx2 v[23:24], v[21:22], off offset:-2048
	v_add_f64 v[3:4], v[3:4], v[27:28]
	v_add_f64 v[3:4], v[25:26], v[3:4]
	v_add_co_u32 v25, vcc_lo, v1, 0x16000
	v_add_co_ci_u32_e32 v26, vcc_lo, 0, v2, vcc_lo
	global_load_dwordx2 v[27:28], v[25:26], off offset:-2048
	v_add_f64 v[3:4], v[31:32], v[3:4]
	v_add_f64 v[3:4], v[29:30], v[3:4]
	v_add_co_u32 v29, vcc_lo, v1, 0x17000
	v_add_co_ci_u32_e32 v30, vcc_lo, 0, v2, vcc_lo
	s_clause 0x4
	global_load_dwordx2 v[31:32], v[29:30], off offset:-2048
	global_load_dwordx2 v[17:18], v[17:18], off
	global_load_dwordx2 v[21:22], v[21:22], off
	global_load_dwordx2 v[25:26], v[25:26], off
	global_load_dwordx2 v[29:30], v[29:30], off
	v_add_f64 v[3:4], v[35:36], v[3:4]
	v_add_f64 v[3:4], v[7:8], v[3:4]
	v_add_co_u32 v7, vcc_lo, v1, 0x18000
	v_add_co_ci_u32_e32 v8, vcc_lo, 0, v2, vcc_lo
	s_clause 0x3
	global_load_dwordx2 v[35:36], v[7:8], off offset:-2048
	global_load_dwordx2 v[5:6], v[5:6], off
	global_load_dwordx2 v[7:8], v[7:8], off
	global_load_dwordx2 v[9:10], v[9:10], off
	s_waitcnt vmcnt(15)
	v_add_f64 v[3:4], v[33:34], v[3:4]
	s_waitcnt vmcnt(2)
	v_add_f64 v[3:4], v[5:6], v[3:4]
	v_add_co_u32 v5, vcc_lo, v1, 0x19000
	v_add_co_ci_u32_e32 v6, vcc_lo, 0, v2, vcc_lo
	global_load_dwordx2 v[33:34], v[5:6], off offset:-2048
	v_add_f64 v[3:4], v[11:12], v[3:4]
	s_waitcnt vmcnt(1)
	v_add_f64 v[3:4], v[9:10], v[3:4]
	v_add_co_u32 v9, vcc_lo, v1, 0x1a000
	v_add_co_ci_u32_e32 v10, vcc_lo, 0, v2, vcc_lo
	global_load_dwordx2 v[11:12], v[9:10], off offset:-2048
	v_add_f64 v[3:4], v[15:16], v[3:4]
	v_add_f64 v[3:4], v[13:14], v[3:4]
	v_add_co_u32 v13, vcc_lo, v1, 0x1b000
	v_add_co_ci_u32_e32 v14, vcc_lo, 0, v2, vcc_lo
	s_clause 0x1
	global_load_dwordx2 v[15:16], v[13:14], off offset:-2048
	global_load_dwordx2 v[13:14], v[13:14], off
	v_add_f64 v[3:4], v[19:20], v[3:4]
	v_add_f64 v[3:4], v[17:18], v[3:4]
	v_add_co_u32 v17, vcc_lo, v1, 0x1c000
	v_add_co_ci_u32_e32 v18, vcc_lo, 0, v2, vcc_lo
	global_load_dwordx2 v[19:20], v[17:18], off offset:-2048
	v_add_f64 v[3:4], v[23:24], v[3:4]
	v_add_f64 v[3:4], v[21:22], v[3:4]
	v_add_co_u32 v21, vcc_lo, v1, 0x1d000
	v_add_co_ci_u32_e32 v22, vcc_lo, 0, v2, vcc_lo
	global_load_dwordx2 v[23:24], v[21:22], off offset:-2048
	v_add_f64 v[3:4], v[27:28], v[3:4]
	v_add_f64 v[3:4], v[25:26], v[3:4]
	v_add_co_u32 v25, vcc_lo, v1, 0x1e000
	v_add_co_ci_u32_e32 v26, vcc_lo, 0, v2, vcc_lo
	global_load_dwordx2 v[27:28], v[25:26], off offset:-2048
	v_add_f64 v[3:4], v[31:32], v[3:4]
	v_add_f64 v[3:4], v[29:30], v[3:4]
	v_add_co_u32 v29, vcc_lo, v1, 0x1f000
	v_add_co_ci_u32_e32 v30, vcc_lo, 0, v2, vcc_lo
	s_clause 0x4
	global_load_dwordx2 v[31:32], v[29:30], off offset:-2048
	global_load_dwordx2 v[17:18], v[17:18], off
	global_load_dwordx2 v[21:22], v[21:22], off
	global_load_dwordx2 v[25:26], v[25:26], off
	global_load_dwordx2 v[29:30], v[29:30], off
	v_add_f64 v[3:4], v[35:36], v[3:4]
	;; [unrolled: 54-line block ×3, first 2 shown]
	v_add_f64 v[3:4], v[7:8], v[3:4]
	v_add_co_u32 v7, vcc_lo, v1, 0x28000
	v_add_co_ci_u32_e32 v8, vcc_lo, 0, v2, vcc_lo
	s_clause 0x3
	global_load_dwordx2 v[35:36], v[7:8], off offset:-2048
	global_load_dwordx2 v[5:6], v[5:6], off
	global_load_dwordx2 v[7:8], v[7:8], off
	;; [unrolled: 1-line block ×3, first 2 shown]
	s_waitcnt vmcnt(15)
	v_add_f64 v[3:4], v[33:34], v[3:4]
	s_waitcnt vmcnt(2)
	v_add_f64 v[3:4], v[5:6], v[3:4]
	v_add_co_u32 v5, vcc_lo, v1, 0x29000
	v_add_co_ci_u32_e32 v6, vcc_lo, 0, v2, vcc_lo
	global_load_dwordx2 v[33:34], v[5:6], off offset:-2048
	v_add_f64 v[3:4], v[11:12], v[3:4]
	s_waitcnt vmcnt(1)
	v_add_f64 v[3:4], v[9:10], v[3:4]
	v_add_co_u32 v9, vcc_lo, v1, 0x2a000
	v_add_co_ci_u32_e32 v10, vcc_lo, 0, v2, vcc_lo
	global_load_dwordx2 v[11:12], v[9:10], off offset:-2048
	v_add_f64 v[3:4], v[15:16], v[3:4]
	v_add_f64 v[3:4], v[13:14], v[3:4]
	v_add_co_u32 v13, vcc_lo, v1, 0x2b000
	v_add_co_ci_u32_e32 v14, vcc_lo, 0, v2, vcc_lo
	s_clause 0x1
	global_load_dwordx2 v[15:16], v[13:14], off offset:-2048
	global_load_dwordx2 v[13:14], v[13:14], off
	v_add_f64 v[3:4], v[19:20], v[3:4]
	v_add_f64 v[3:4], v[17:18], v[3:4]
	v_add_co_u32 v17, vcc_lo, v1, 0x2c000
	v_add_co_ci_u32_e32 v18, vcc_lo, 0, v2, vcc_lo
	global_load_dwordx2 v[19:20], v[17:18], off offset:-2048
	v_add_f64 v[3:4], v[23:24], v[3:4]
	v_add_f64 v[3:4], v[21:22], v[3:4]
	v_add_co_u32 v21, vcc_lo, v1, 0x2d000
	v_add_co_ci_u32_e32 v22, vcc_lo, 0, v2, vcc_lo
	global_load_dwordx2 v[23:24], v[21:22], off offset:-2048
	;; [unrolled: 5-line block ×3, first 2 shown]
	v_add_f64 v[3:4], v[31:32], v[3:4]
	v_add_f64 v[3:4], v[29:30], v[3:4]
	v_add_co_u32 v29, vcc_lo, v1, 0x2f000
	v_add_co_ci_u32_e32 v30, vcc_lo, 0, v2, vcc_lo
	s_clause 0x3
	global_load_dwordx2 v[31:32], v[29:30], off offset:-2048
	global_load_dwordx2 v[21:22], v[21:22], off
	global_load_dwordx2 v[25:26], v[25:26], off
	;; [unrolled: 1-line block ×3, first 2 shown]
	v_add_f64 v[3:4], v[35:36], v[3:4]
	v_add_f64 v[3:4], v[7:8], v[3:4]
	v_add_co_u32 v7, vcc_lo, v1, 0x30000
	v_add_co_ci_u32_e32 v8, vcc_lo, 0, v2, vcc_lo
	s_clause 0x3
	global_load_dwordx2 v[35:36], v[7:8], off offset:-2048
	global_load_dwordx2 v[5:6], v[5:6], off
	global_load_dwordx2 v[7:8], v[7:8], off
	;; [unrolled: 1-line block ×3, first 2 shown]
	s_waitcnt vmcnt(14)
	v_add_f64 v[3:4], v[33:34], v[3:4]
	s_waitcnt vmcnt(2)
	v_add_f64 v[3:4], v[5:6], v[3:4]
	v_add_co_u32 v5, vcc_lo, v1, 0x31000
	v_add_co_ci_u32_e32 v6, vcc_lo, 0, v2, vcc_lo
	global_load_dwordx2 v[33:34], v[5:6], off offset:-2048
	v_add_f64 v[3:4], v[11:12], v[3:4]
	s_waitcnt vmcnt(1)
	v_add_f64 v[3:4], v[9:10], v[3:4]
	v_add_co_u32 v9, vcc_lo, v1, 0x32000
	v_add_co_ci_u32_e32 v10, vcc_lo, 0, v2, vcc_lo
	global_load_dwordx2 v[11:12], v[9:10], off offset:-2048
	v_add_f64 v[3:4], v[15:16], v[3:4]
	v_add_f64 v[3:4], v[13:14], v[3:4]
	v_add_co_u32 v13, vcc_lo, v1, 0x33000
	v_add_co_ci_u32_e32 v14, vcc_lo, 0, v2, vcc_lo
	s_clause 0x1
	global_load_dwordx2 v[15:16], v[13:14], off offset:-2048
	global_load_dwordx2 v[17:18], v[17:18], off
	v_add_f64 v[3:4], v[19:20], v[3:4]
	s_waitcnt vmcnt(0)
	v_add_f64 v[3:4], v[17:18], v[3:4]
	v_add_co_u32 v17, vcc_lo, v1, 0x34000
	v_add_co_ci_u32_e32 v18, vcc_lo, 0, v2, vcc_lo
	s_clause 0x1
	global_load_dwordx2 v[19:20], v[17:18], off offset:-2048
	global_load_dwordx2 v[17:18], v[17:18], off
	v_add_f64 v[3:4], v[23:24], v[3:4]
	v_add_f64 v[3:4], v[21:22], v[3:4]
	v_add_co_u32 v21, vcc_lo, v1, 0x35000
	v_add_co_ci_u32_e32 v22, vcc_lo, 0, v2, vcc_lo
	s_clause 0x1
	global_load_dwordx2 v[23:24], v[21:22], off offset:-2048
	global_load_dwordx2 v[21:22], v[21:22], off
	v_add_f64 v[3:4], v[27:28], v[3:4]
	v_add_f64 v[3:4], v[25:26], v[3:4]
	v_add_co_u32 v25, vcc_lo, v1, 0x36000
	v_add_co_ci_u32_e32 v26, vcc_lo, 0, v2, vcc_lo
	global_load_dwordx2 v[27:28], v[25:26], off offset:-2048
	v_add_f64 v[3:4], v[31:32], v[3:4]
	v_add_f64 v[3:4], v[29:30], v[3:4]
	v_add_co_u32 v29, vcc_lo, v1, 0x37000
	v_add_co_ci_u32_e32 v30, vcc_lo, 0, v2, vcc_lo
	s_clause 0x2
	global_load_dwordx2 v[31:32], v[29:30], off offset:-2048
	global_load_dwordx2 v[25:26], v[25:26], off
	global_load_dwordx2 v[29:30], v[29:30], off
	v_add_f64 v[3:4], v[35:36], v[3:4]
	v_add_f64 v[3:4], v[7:8], v[3:4]
	v_add_co_u32 v7, vcc_lo, v1, 0x38000
	v_add_co_ci_u32_e32 v8, vcc_lo, 0, v2, vcc_lo
	s_clause 0x4
	global_load_dwordx2 v[35:36], v[7:8], off offset:-2048
	global_load_dwordx2 v[5:6], v[5:6], off
	global_load_dwordx2 v[13:14], v[13:14], off
	;; [unrolled: 1-line block ×4, first 2 shown]
	v_add_f64 v[3:4], v[33:34], v[3:4]
	s_waitcnt vmcnt(3)
	v_add_f64 v[3:4], v[5:6], v[3:4]
	v_add_co_u32 v5, vcc_lo, v1, 0x39000
	v_add_co_ci_u32_e32 v6, vcc_lo, 0, v2, vcc_lo
	s_clause 0x1
	global_load_dwordx2 v[33:34], v[5:6], off offset:-2048
	global_load_dwordx2 v[5:6], v[5:6], off
	v_add_f64 v[3:4], v[11:12], v[3:4]
	s_waitcnt vmcnt(3)
	v_add_f64 v[3:4], v[9:10], v[3:4]
	v_add_co_u32 v9, vcc_lo, v1, 0x3a000
	v_add_co_ci_u32_e32 v10, vcc_lo, 0, v2, vcc_lo
	global_load_dwordx2 v[11:12], v[9:10], off offset:-2048
	v_add_f64 v[3:4], v[15:16], v[3:4]
	v_add_f64 v[3:4], v[13:14], v[3:4]
	v_add_co_u32 v13, vcc_lo, v1, 0x3b000
	v_add_co_ci_u32_e32 v14, vcc_lo, 0, v2, vcc_lo
	global_load_dwordx2 v[15:16], v[13:14], off offset:-2048
	v_add_f64 v[3:4], v[19:20], v[3:4]
	v_add_f64 v[3:4], v[17:18], v[3:4]
	v_add_co_u32 v17, vcc_lo, v1, 0x3c000
	v_add_co_ci_u32_e32 v18, vcc_lo, 0, v2, vcc_lo
	s_clause 0x3
	global_load_dwordx2 v[19:20], v[17:18], off offset:-2048
	global_load_dwordx2 v[9:10], v[9:10], off
	global_load_dwordx2 v[13:14], v[13:14], off
	;; [unrolled: 1-line block ×3, first 2 shown]
	v_add_f64 v[3:4], v[23:24], v[3:4]
	v_add_f64 v[3:4], v[21:22], v[3:4]
	v_add_co_u32 v21, vcc_lo, v1, 0x3d000
	v_add_co_ci_u32_e32 v22, vcc_lo, 0, v2, vcc_lo
	s_clause 0x1
	global_load_dwordx2 v[23:24], v[21:22], off offset:-2048
	global_load_dwordx2 v[21:22], v[21:22], off
	v_add_f64 v[3:4], v[27:28], v[3:4]
	v_add_f64 v[3:4], v[25:26], v[3:4]
	v_add_co_u32 v25, vcc_lo, v1, 0x3e000
	v_add_co_ci_u32_e32 v26, vcc_lo, 0, v2, vcc_lo
	global_load_dwordx2 v[27:28], v[25:26], off offset:-2048
	v_add_f64 v[3:4], v[31:32], v[3:4]
	v_add_f64 v[3:4], v[29:30], v[3:4]
	v_add_co_u32 v29, vcc_lo, v1, 0x3f000
	v_add_co_ci_u32_e32 v30, vcc_lo, 0, v2, vcc_lo
	s_clause 0x2
	global_load_dwordx2 v[31:32], v[29:30], off offset:-2048
	global_load_dwordx2 v[25:26], v[25:26], off
	global_load_dwordx2 v[29:30], v[29:30], off
	v_add_f64 v[3:4], v[35:36], v[3:4]
	s_waitcnt vmcnt(14)
	v_add_f64 v[3:4], v[7:8], v[3:4]
	s_waitcnt vmcnt(13)
	;; [unrolled: 2-line block ×5, first 2 shown]
	v_add_f64 v[3:4], v[9:10], v[3:4]
	v_add_f64 v[3:4], v[15:16], v[3:4]
	s_waitcnt vmcnt(7)
	v_add_f64 v[3:4], v[13:14], v[3:4]
	v_add_f64 v[3:4], v[19:20], v[3:4]
	s_waitcnt vmcnt(6)
	v_add_f64 v[3:4], v[17:18], v[3:4]
	s_waitcnt vmcnt(5)
	;; [unrolled: 2-line block ×5, first 2 shown]
	v_add_f64 v[3:4], v[25:26], v[3:4]
	v_add_f64 v[3:4], v[31:32], v[3:4]
	s_waitcnt vmcnt(0)
	v_add_f64 v[3:4], v[29:30], v[3:4]
	v_add_f64 v[3:4], v[37:38], v[3:4]
	v_mov_b32_dpp v5, v3 quad_perm:[1,0,3,2] row_mask:0xf bank_mask:0xf
	v_mov_b32_dpp v6, v4 quad_perm:[1,0,3,2] row_mask:0xf bank_mask:0xf
	v_add_f64 v[3:4], v[3:4], v[5:6]
	v_mov_b32_dpp v5, v3 quad_perm:[2,3,0,1] row_mask:0xf bank_mask:0xf
	v_mov_b32_dpp v6, v4 quad_perm:[2,3,0,1] row_mask:0xf bank_mask:0xf
	v_add_f64 v[3:4], v[3:4], v[5:6]
	v_mov_b32_dpp v5, v3 row_ror:4 row_mask:0xf bank_mask:0xf
	v_mov_b32_dpp v6, v4 row_ror:4 row_mask:0xf bank_mask:0xf
	v_add_f64 v[3:4], v[3:4], v[5:6]
	v_mov_b32_dpp v5, v3 row_ror:8 row_mask:0xf bank_mask:0xf
	v_mov_b32_dpp v6, v4 row_ror:8 row_mask:0xf bank_mask:0xf
	v_add_f64 v[3:4], v[3:4], v[5:6]
	ds_swizzle_b32 v5, v3 offset:swizzle(BROADCAST,32,15)
	ds_swizzle_b32 v6, v4 offset:swizzle(BROADCAST,32,15)
	s_waitcnt lgkmcnt(0)
	v_add_f64 v[3:4], v[3:4], v[5:6]
	v_mov_b32_e32 v5, 0
	ds_bpermute_b32 v3, v5, v3 offset:124
	ds_bpermute_b32 v4, v5, v4 offset:124
	v_mbcnt_lo_u32_b32 v5, -1, 0
	v_cmpx_eq_u32_e32 0, v5
	s_cbranch_execz .LBB7_3
; %bb.2:
	v_lshrrev_b32_e32 v6, 2, v0
	v_and_b32_e32 v6, 56, v6
	s_waitcnt lgkmcnt(0)
	ds_write_b64 v6, v[3:4]
.LBB7_3:
	s_or_b32 exec_lo, exec_lo, s1
	s_mov_b32 s1, exec_lo
	s_waitcnt lgkmcnt(0)
	s_barrier
	buffer_gl0_inv
	v_cmpx_gt_u32_e32 32, v0
	s_cbranch_execz .LBB7_5
; %bb.4:
	v_and_b32_e32 v8, 7, v5
	v_lshlrev_b32_e32 v3, 3, v8
	v_cmp_ne_u32_e32 vcc_lo, 7, v8
	ds_read_b64 v[3:4], v3
	v_add_co_ci_u32_e32 v6, vcc_lo, 0, v5, vcc_lo
	v_cmp_gt_u32_e32 vcc_lo, 6, v8
	v_lshlrev_b32_e32 v7, 2, v6
	s_waitcnt lgkmcnt(0)
	ds_bpermute_b32 v6, v7, v3
	ds_bpermute_b32 v7, v7, v4
	s_waitcnt lgkmcnt(0)
	v_add_f64 v[3:4], v[3:4], v[6:7]
	v_cndmask_b32_e64 v6, 0, 1, vcc_lo
	v_cmp_gt_u32_e32 vcc_lo, 4, v8
	v_lshlrev_b32_e32 v6, 1, v6
	v_add_lshl_u32 v7, v6, v5, 2
	ds_bpermute_b32 v6, v7, v3
	ds_bpermute_b32 v7, v7, v4
	s_waitcnt lgkmcnt(0)
	v_add_f64 v[3:4], v[3:4], v[6:7]
	v_cndmask_b32_e64 v6, 0, 1, vcc_lo
	v_lshlrev_b32_e32 v6, 2, v6
	v_add_lshl_u32 v6, v6, v5, 2
	ds_bpermute_b32 v5, v6, v3
	ds_bpermute_b32 v6, v6, v4
	s_waitcnt lgkmcnt(0)
	v_add_f64 v[3:4], v[3:4], v[5:6]
.LBB7_5:
	s_or_b32 exec_lo, exec_lo, s1
	s_branch .LBB7_284
.LBB7_6:
                                        ; implicit-def: $vgpr3_vgpr4
	s_cbranch_execz .LBB7_284
; %bb.7:
	v_readlane_b32 s8, v254, 0
	v_readlane_b32 s10, v254, 2
	;; [unrolled: 1-line block ×6, first 2 shown]
	s_sub_i32 s29, s10, s0
	s_mov_b32 s0, exec_lo
	v_readlane_b32 s14, v254, 6
	v_readlane_b32 s15, v254, 7
                                        ; implicit-def: $vgpr3_vgpr4
	v_cmpx_gt_u32_e64 s29, v0
	s_cbranch_execz .LBB7_9
; %bb.8:
	global_load_dwordx2 v[3:4], v[1:2], off
.LBB7_9:
	s_or_b32 exec_lo, exec_lo, s0
	v_or_b32_e32 v5, 0x100, v0
	v_cmp_gt_u32_e64 s1, s29, v5
                                        ; implicit-def: $vgpr5_vgpr6
                                        ; kill: killed $vgpr5_vgpr6
	v_writelane_b32 v254, s1, 8
	s_and_saveexec_b32 s0, s1
	s_cbranch_execz .LBB7_11
; %bb.10:
	v_add_co_u32 v5, vcc_lo, 0x800, v1
	v_add_co_ci_u32_e32 v6, vcc_lo, 0, v2, vcc_lo
	global_load_dwordx2 v[5:6], v[5:6], off
	s_waitcnt vmcnt(0)
	buffer_store_dword v5, off, s[100:103], 0 ; 4-byte Folded Spill
	buffer_store_dword v6, off, s[100:103], 0 offset:4 ; 4-byte Folded Spill
.LBB7_11:
	s_or_b32 exec_lo, exec_lo, s0
	v_or_b32_e32 v5, 0x200, v0
	v_cmp_gt_u32_e64 s1, s29, v5
                                        ; implicit-def: $vgpr5_vgpr6
                                        ; kill: killed $vgpr5_vgpr6
	v_writelane_b32 v254, s1, 9
	s_and_saveexec_b32 s0, s1
	s_cbranch_execz .LBB7_13
; %bb.12:
	v_add_co_u32 v5, vcc_lo, 0x1000, v1
	v_add_co_ci_u32_e32 v6, vcc_lo, 0, v2, vcc_lo
	global_load_dwordx2 v[5:6], v[5:6], off
	s_waitcnt vmcnt(0)
	buffer_store_dword v5, off, s[100:103], 0 offset:8 ; 4-byte Folded Spill
	buffer_store_dword v6, off, s[100:103], 0 offset:12 ; 4-byte Folded Spill
.LBB7_13:
	s_or_b32 exec_lo, exec_lo, s0
	v_or_b32_e32 v5, 0x300, v0
	v_cmp_gt_u32_e64 s1, s29, v5
                                        ; implicit-def: $vgpr5_vgpr6
                                        ; kill: killed $vgpr5_vgpr6
	v_writelane_b32 v254, s1, 10
	s_and_saveexec_b32 s0, s1
	s_cbranch_execz .LBB7_15
; %bb.14:
	v_add_co_u32 v5, vcc_lo, 0x1800, v1
	v_add_co_ci_u32_e32 v6, vcc_lo, 0, v2, vcc_lo
	global_load_dwordx2 v[5:6], v[5:6], off
	s_waitcnt vmcnt(0)
	buffer_store_dword v5, off, s[100:103], 0 offset:16 ; 4-byte Folded Spill
	buffer_store_dword v6, off, s[100:103], 0 offset:20 ; 4-byte Folded Spill
.LBB7_15:
	s_or_b32 exec_lo, exec_lo, s0
	v_or_b32_e32 v5, 0x400, v0
                                        ; implicit-def: $vgpr11_vgpr12
	v_cmp_gt_u32_e64 s1, s29, v5
	v_writelane_b32 v254, s1, 11
	s_and_saveexec_b32 s0, s1
	s_cbranch_execz .LBB7_17
; %bb.16:
	v_add_co_u32 v5, vcc_lo, 0x2000, v1
	v_add_co_ci_u32_e32 v6, vcc_lo, 0, v2, vcc_lo
	global_load_dwordx2 v[11:12], v[5:6], off
.LBB7_17:
	s_or_b32 exec_lo, exec_lo, s0
	v_or_b32_e32 v5, 0x500, v0
                                        ; implicit-def: $vgpr13_vgpr14
	v_cmp_gt_u32_e64 s1, s29, v5
	v_writelane_b32 v254, s1, 12
	s_and_saveexec_b32 s0, s1
	s_cbranch_execz .LBB7_19
; %bb.18:
	v_add_co_u32 v5, vcc_lo, 0x2800, v1
	v_add_co_ci_u32_e32 v6, vcc_lo, 0, v2, vcc_lo
	global_load_dwordx2 v[13:14], v[5:6], off
.LBB7_19:
	s_or_b32 exec_lo, exec_lo, s0
	v_or_b32_e32 v5, 0x600, v0
                                        ; implicit-def: $vgpr15_vgpr16
	v_cmp_gt_u32_e64 s1, s29, v5
	v_writelane_b32 v254, s1, 13
	s_and_saveexec_b32 s0, s1
	s_cbranch_execz .LBB7_21
; %bb.20:
	v_add_co_u32 v5, vcc_lo, 0x3000, v1
	v_add_co_ci_u32_e32 v6, vcc_lo, 0, v2, vcc_lo
	global_load_dwordx2 v[15:16], v[5:6], off
.LBB7_21:
	s_or_b32 exec_lo, exec_lo, s0
	v_or_b32_e32 v5, 0x700, v0
                                        ; implicit-def: $vgpr17_vgpr18
	v_cmp_gt_u32_e64 s1, s29, v5
	v_writelane_b32 v254, s1, 14
	s_and_saveexec_b32 s0, s1
	s_cbranch_execz .LBB7_23
; %bb.22:
	v_add_co_u32 v5, vcc_lo, 0x3800, v1
	v_add_co_ci_u32_e32 v6, vcc_lo, 0, v2, vcc_lo
	global_load_dwordx2 v[17:18], v[5:6], off
.LBB7_23:
	s_or_b32 exec_lo, exec_lo, s0
	v_or_b32_e32 v5, 0x800, v0
                                        ; implicit-def: $vgpr19_vgpr20
	v_cmp_gt_u32_e64 s1, s29, v5
	v_writelane_b32 v254, s1, 15
	s_and_saveexec_b32 s0, s1
	s_cbranch_execz .LBB7_25
; %bb.24:
	v_add_co_u32 v5, vcc_lo, 0x4000, v1
	v_add_co_ci_u32_e32 v6, vcc_lo, 0, v2, vcc_lo
	global_load_dwordx2 v[19:20], v[5:6], off
.LBB7_25:
	s_or_b32 exec_lo, exec_lo, s0
	v_or_b32_e32 v5, 0x900, v0
                                        ; implicit-def: $vgpr21_vgpr22
	v_cmp_gt_u32_e64 s1, s29, v5
	v_writelane_b32 v254, s1, 16
	s_and_saveexec_b32 s0, s1
	s_cbranch_execz .LBB7_27
; %bb.26:
	v_add_co_u32 v5, vcc_lo, 0x4800, v1
	v_add_co_ci_u32_e32 v6, vcc_lo, 0, v2, vcc_lo
	global_load_dwordx2 v[21:22], v[5:6], off
.LBB7_27:
	s_or_b32 exec_lo, exec_lo, s0
	v_or_b32_e32 v5, 0xa00, v0
                                        ; implicit-def: $vgpr23_vgpr24
	v_cmp_gt_u32_e64 s1, s29, v5
	v_writelane_b32 v254, s1, 17
	s_and_saveexec_b32 s0, s1
	s_cbranch_execz .LBB7_29
; %bb.28:
	v_add_co_u32 v5, vcc_lo, 0x5000, v1
	v_add_co_ci_u32_e32 v6, vcc_lo, 0, v2, vcc_lo
	global_load_dwordx2 v[23:24], v[5:6], off
.LBB7_29:
	s_or_b32 exec_lo, exec_lo, s0
	v_or_b32_e32 v5, 0xb00, v0
                                        ; implicit-def: $vgpr25_vgpr26
	v_cmp_gt_u32_e64 s1, s29, v5
	v_writelane_b32 v254, s1, 18
	s_and_saveexec_b32 s0, s1
	s_cbranch_execz .LBB7_31
; %bb.30:
	v_add_co_u32 v5, vcc_lo, 0x5800, v1
	v_add_co_ci_u32_e32 v6, vcc_lo, 0, v2, vcc_lo
	global_load_dwordx2 v[25:26], v[5:6], off
.LBB7_31:
	s_or_b32 exec_lo, exec_lo, s0
	v_or_b32_e32 v5, 0xc00, v0
                                        ; implicit-def: $vgpr27_vgpr28
	v_cmp_gt_u32_e64 s1, s29, v5
	v_writelane_b32 v254, s1, 19
	s_and_saveexec_b32 s0, s1
	s_cbranch_execz .LBB7_33
; %bb.32:
	v_add_co_u32 v5, vcc_lo, 0x6000, v1
	v_add_co_ci_u32_e32 v6, vcc_lo, 0, v2, vcc_lo
	global_load_dwordx2 v[27:28], v[5:6], off
.LBB7_33:
	s_or_b32 exec_lo, exec_lo, s0
	v_or_b32_e32 v5, 0xd00, v0
                                        ; implicit-def: $vgpr29_vgpr30
	v_cmp_gt_u32_e64 s1, s29, v5
	v_writelane_b32 v254, s1, 20
	s_and_saveexec_b32 s0, s1
	s_cbranch_execz .LBB7_35
; %bb.34:
	v_add_co_u32 v5, vcc_lo, 0x6800, v1
	v_add_co_ci_u32_e32 v6, vcc_lo, 0, v2, vcc_lo
	global_load_dwordx2 v[29:30], v[5:6], off
.LBB7_35:
	s_or_b32 exec_lo, exec_lo, s0
	v_or_b32_e32 v5, 0xe00, v0
                                        ; implicit-def: $vgpr31_vgpr32
	v_cmp_gt_u32_e64 s1, s29, v5
	v_writelane_b32 v254, s1, 21
	s_and_saveexec_b32 s0, s1
	s_cbranch_execz .LBB7_37
; %bb.36:
	v_add_co_u32 v5, vcc_lo, 0x7000, v1
	v_add_co_ci_u32_e32 v6, vcc_lo, 0, v2, vcc_lo
	global_load_dwordx2 v[31:32], v[5:6], off
.LBB7_37:
	s_or_b32 exec_lo, exec_lo, s0
	v_or_b32_e32 v5, 0xf00, v0
                                        ; implicit-def: $vgpr33_vgpr34
	v_cmp_gt_u32_e64 s1, s29, v5
	v_writelane_b32 v254, s1, 22
	s_and_saveexec_b32 s0, s1
	s_cbranch_execz .LBB7_39
; %bb.38:
	v_add_co_u32 v5, vcc_lo, 0x7800, v1
	v_add_co_ci_u32_e32 v6, vcc_lo, 0, v2, vcc_lo
	global_load_dwordx2 v[33:34], v[5:6], off
.LBB7_39:
	s_or_b32 exec_lo, exec_lo, s0
	v_or_b32_e32 v5, 0x1000, v0
                                        ; implicit-def: $vgpr35_vgpr36
	v_cmp_gt_u32_e64 s1, s29, v5
	v_writelane_b32 v254, s1, 23
	s_and_saveexec_b32 s0, s1
	s_cbranch_execz .LBB7_41
; %bb.40:
	v_add_co_u32 v5, vcc_lo, 0x8000, v1
	v_add_co_ci_u32_e32 v6, vcc_lo, 0, v2, vcc_lo
	global_load_dwordx2 v[35:36], v[5:6], off
.LBB7_41:
	s_or_b32 exec_lo, exec_lo, s0
	v_or_b32_e32 v5, 0x1100, v0
                                        ; implicit-def: $vgpr37_vgpr38
	v_cmp_gt_u32_e64 s1, s29, v5
	v_writelane_b32 v254, s1, 24
	s_and_saveexec_b32 s0, s1
	s_cbranch_execz .LBB7_43
; %bb.42:
	v_add_co_u32 v5, vcc_lo, 0x8800, v1
	v_add_co_ci_u32_e32 v6, vcc_lo, 0, v2, vcc_lo
	global_load_dwordx2 v[37:38], v[5:6], off
.LBB7_43:
	s_or_b32 exec_lo, exec_lo, s0
	v_or_b32_e32 v5, 0x1200, v0
                                        ; implicit-def: $vgpr39_vgpr40
	v_cmp_gt_u32_e64 s1, s29, v5
	v_writelane_b32 v254, s1, 25
	s_and_saveexec_b32 s0, s1
	s_cbranch_execz .LBB7_45
; %bb.44:
	v_add_co_u32 v5, vcc_lo, 0x9000, v1
	v_add_co_ci_u32_e32 v6, vcc_lo, 0, v2, vcc_lo
	global_load_dwordx2 v[39:40], v[5:6], off
.LBB7_45:
	s_or_b32 exec_lo, exec_lo, s0
	v_or_b32_e32 v5, 0x1300, v0
                                        ; implicit-def: $vgpr41_vgpr42
	v_cmp_gt_u32_e64 s1, s29, v5
	v_writelane_b32 v254, s1, 26
	s_and_saveexec_b32 s0, s1
	s_cbranch_execz .LBB7_47
; %bb.46:
	v_add_co_u32 v5, vcc_lo, 0x9800, v1
	v_add_co_ci_u32_e32 v6, vcc_lo, 0, v2, vcc_lo
	global_load_dwordx2 v[41:42], v[5:6], off
.LBB7_47:
	s_or_b32 exec_lo, exec_lo, s0
	v_or_b32_e32 v5, 0x1400, v0
                                        ; implicit-def: $vgpr43_vgpr44
	v_cmp_gt_u32_e64 s1, s29, v5
	v_writelane_b32 v254, s1, 27
	s_and_saveexec_b32 s0, s1
	s_cbranch_execz .LBB7_49
; %bb.48:
	v_add_co_u32 v5, vcc_lo, 0xa000, v1
	v_add_co_ci_u32_e32 v6, vcc_lo, 0, v2, vcc_lo
	global_load_dwordx2 v[43:44], v[5:6], off
.LBB7_49:
	s_or_b32 exec_lo, exec_lo, s0
	v_or_b32_e32 v5, 0x1500, v0
                                        ; implicit-def: $vgpr45_vgpr46
	v_cmp_gt_u32_e64 s1, s29, v5
	v_writelane_b32 v254, s1, 28
	s_and_saveexec_b32 s0, s1
	s_cbranch_execz .LBB7_51
; %bb.50:
	v_add_co_u32 v5, vcc_lo, 0xa800, v1
	v_add_co_ci_u32_e32 v6, vcc_lo, 0, v2, vcc_lo
	global_load_dwordx2 v[45:46], v[5:6], off
.LBB7_51:
	s_or_b32 exec_lo, exec_lo, s0
	v_or_b32_e32 v5, 0x1600, v0
                                        ; implicit-def: $vgpr47_vgpr48
	v_cmp_gt_u32_e64 s1, s29, v5
	v_writelane_b32 v254, s1, 29
	s_and_saveexec_b32 s0, s1
	s_cbranch_execz .LBB7_53
; %bb.52:
	v_add_co_u32 v5, vcc_lo, 0xb000, v1
	v_add_co_ci_u32_e32 v6, vcc_lo, 0, v2, vcc_lo
	global_load_dwordx2 v[47:48], v[5:6], off
.LBB7_53:
	s_or_b32 exec_lo, exec_lo, s0
	v_or_b32_e32 v5, 0x1700, v0
                                        ; implicit-def: $vgpr49_vgpr50
	v_cmp_gt_u32_e64 s1, s29, v5
	v_writelane_b32 v254, s1, 30
	s_and_saveexec_b32 s0, s1
	s_cbranch_execz .LBB7_55
; %bb.54:
	v_add_co_u32 v5, vcc_lo, 0xb800, v1
	v_add_co_ci_u32_e32 v6, vcc_lo, 0, v2, vcc_lo
	global_load_dwordx2 v[49:50], v[5:6], off
.LBB7_55:
	s_or_b32 exec_lo, exec_lo, s0
	v_or_b32_e32 v5, 0x1800, v0
                                        ; implicit-def: $vgpr51_vgpr52
	v_cmp_gt_u32_e64 s1, s29, v5
	v_writelane_b32 v254, s1, 31
	s_and_saveexec_b32 s0, s1
	s_cbranch_execz .LBB7_57
; %bb.56:
	v_add_co_u32 v5, vcc_lo, 0xc000, v1
	v_add_co_ci_u32_e32 v6, vcc_lo, 0, v2, vcc_lo
	global_load_dwordx2 v[51:52], v[5:6], off
.LBB7_57:
	s_or_b32 exec_lo, exec_lo, s0
	v_or_b32_e32 v5, 0x1900, v0
                                        ; implicit-def: $vgpr253 : SGPR spill to VGPR lane
                                        ; implicit-def: $vgpr53_vgpr54
	v_cmp_gt_u32_e64 s1, s29, v5
	v_writelane_b32 v253, s1, 0
	s_and_saveexec_b32 s0, s1
	s_cbranch_execz .LBB7_59
; %bb.58:
	v_add_co_u32 v5, vcc_lo, 0xc800, v1
	v_add_co_ci_u32_e32 v6, vcc_lo, 0, v2, vcc_lo
	global_load_dwordx2 v[53:54], v[5:6], off
.LBB7_59:
	s_or_b32 exec_lo, exec_lo, s0
	v_or_b32_e32 v5, 0x1a00, v0
                                        ; implicit-def: $vgpr55_vgpr56
	v_cmp_gt_u32_e64 s1, s29, v5
	v_writelane_b32 v253, s1, 1
	s_and_saveexec_b32 s0, s1
	s_cbranch_execz .LBB7_61
; %bb.60:
	v_add_co_u32 v5, vcc_lo, 0xd000, v1
	v_add_co_ci_u32_e32 v6, vcc_lo, 0, v2, vcc_lo
	global_load_dwordx2 v[55:56], v[5:6], off
.LBB7_61:
	s_or_b32 exec_lo, exec_lo, s0
	v_or_b32_e32 v5, 0x1b00, v0
                                        ; implicit-def: $vgpr57_vgpr58
	v_cmp_gt_u32_e64 s1, s29, v5
	v_writelane_b32 v253, s1, 2
	s_and_saveexec_b32 s0, s1
	s_cbranch_execz .LBB7_63
; %bb.62:
	v_add_co_u32 v5, vcc_lo, 0xd800, v1
	v_add_co_ci_u32_e32 v6, vcc_lo, 0, v2, vcc_lo
	global_load_dwordx2 v[57:58], v[5:6], off
.LBB7_63:
	s_or_b32 exec_lo, exec_lo, s0
	v_or_b32_e32 v5, 0x1c00, v0
                                        ; implicit-def: $vgpr59_vgpr60
	v_cmp_gt_u32_e64 s1, s29, v5
	v_writelane_b32 v253, s1, 3
	s_and_saveexec_b32 s0, s1
	s_cbranch_execz .LBB7_65
; %bb.64:
	v_add_co_u32 v5, vcc_lo, 0xe000, v1
	v_add_co_ci_u32_e32 v6, vcc_lo, 0, v2, vcc_lo
	global_load_dwordx2 v[59:60], v[5:6], off
.LBB7_65:
	s_or_b32 exec_lo, exec_lo, s0
	v_or_b32_e32 v5, 0x1d00, v0
                                        ; implicit-def: $vgpr61_vgpr62
	v_cmp_gt_u32_e64 s1, s29, v5
	v_writelane_b32 v253, s1, 4
	s_and_saveexec_b32 s0, s1
	s_cbranch_execz .LBB7_67
; %bb.66:
	v_add_co_u32 v5, vcc_lo, 0xe800, v1
	v_add_co_ci_u32_e32 v6, vcc_lo, 0, v2, vcc_lo
	global_load_dwordx2 v[61:62], v[5:6], off
.LBB7_67:
	s_or_b32 exec_lo, exec_lo, s0
	v_or_b32_e32 v5, 0x1e00, v0
                                        ; implicit-def: $vgpr63_vgpr64
	v_cmp_gt_u32_e64 s1, s29, v5
	v_writelane_b32 v253, s1, 5
	s_and_saveexec_b32 s0, s1
	s_cbranch_execz .LBB7_69
; %bb.68:
	v_add_co_u32 v5, vcc_lo, 0xf000, v1
	v_add_co_ci_u32_e32 v6, vcc_lo, 0, v2, vcc_lo
	global_load_dwordx2 v[63:64], v[5:6], off
.LBB7_69:
	s_or_b32 exec_lo, exec_lo, s0
	v_or_b32_e32 v5, 0x1f00, v0
                                        ; implicit-def: $vgpr65_vgpr66
	v_cmp_gt_u32_e64 s31, s29, v5
	s_and_saveexec_b32 s0, s31
	s_cbranch_execz .LBB7_71
; %bb.70:
	v_add_co_u32 v5, vcc_lo, 0xf800, v1
	v_add_co_ci_u32_e32 v6, vcc_lo, 0, v2, vcc_lo
	global_load_dwordx2 v[65:66], v[5:6], off
.LBB7_71:
	s_or_b32 exec_lo, exec_lo, s0
	v_or_b32_e32 v5, 0x2000, v0
                                        ; implicit-def: $vgpr67_vgpr68
	v_cmp_gt_u32_e64 s33, s29, v5
	s_and_saveexec_b32 s0, s33
	s_cbranch_execz .LBB7_73
; %bb.72:
	v_add_co_u32 v5, vcc_lo, 0x10000, v1
	v_add_co_ci_u32_e32 v6, vcc_lo, 0, v2, vcc_lo
	global_load_dwordx2 v[67:68], v[5:6], off
.LBB7_73:
	s_or_b32 exec_lo, exec_lo, s0
	v_or_b32_e32 v5, 0x2100, v0
                                        ; implicit-def: $vgpr69_vgpr70
	v_cmp_gt_u32_e64 s34, s29, v5
	s_and_saveexec_b32 s0, s34
	s_cbranch_execz .LBB7_75
; %bb.74:
	v_add_co_u32 v5, vcc_lo, 0x10800, v1
	v_add_co_ci_u32_e32 v6, vcc_lo, 0, v2, vcc_lo
	global_load_dwordx2 v[69:70], v[5:6], off
.LBB7_75:
	s_or_b32 exec_lo, exec_lo, s0
	v_or_b32_e32 v5, 0x2200, v0
                                        ; implicit-def: $vgpr71_vgpr72
	v_cmp_gt_u32_e64 s35, s29, v5
	s_and_saveexec_b32 s0, s35
	s_cbranch_execz .LBB7_77
; %bb.76:
	v_add_co_u32 v5, vcc_lo, 0x11000, v1
	v_add_co_ci_u32_e32 v6, vcc_lo, 0, v2, vcc_lo
	global_load_dwordx2 v[71:72], v[5:6], off
.LBB7_77:
	s_or_b32 exec_lo, exec_lo, s0
	v_or_b32_e32 v5, 0x2300, v0
                                        ; implicit-def: $vgpr73_vgpr74
	v_cmp_gt_u32_e64 s36, s29, v5
	s_and_saveexec_b32 s0, s36
	s_cbranch_execz .LBB7_79
; %bb.78:
	v_add_co_u32 v5, vcc_lo, 0x11800, v1
	v_add_co_ci_u32_e32 v6, vcc_lo, 0, v2, vcc_lo
	global_load_dwordx2 v[73:74], v[5:6], off
.LBB7_79:
	s_or_b32 exec_lo, exec_lo, s0
	v_or_b32_e32 v5, 0x2400, v0
                                        ; implicit-def: $vgpr75_vgpr76
	v_cmp_gt_u32_e64 s37, s29, v5
	s_and_saveexec_b32 s0, s37
	s_cbranch_execz .LBB7_81
; %bb.80:
	v_add_co_u32 v5, vcc_lo, 0x12000, v1
	v_add_co_ci_u32_e32 v6, vcc_lo, 0, v2, vcc_lo
	global_load_dwordx2 v[75:76], v[5:6], off
.LBB7_81:
	s_or_b32 exec_lo, exec_lo, s0
	v_or_b32_e32 v5, 0x2500, v0
                                        ; implicit-def: $vgpr77_vgpr78
	v_cmp_gt_u32_e64 s38, s29, v5
	s_and_saveexec_b32 s0, s38
	s_cbranch_execz .LBB7_83
; %bb.82:
	v_add_co_u32 v5, vcc_lo, 0x12800, v1
	v_add_co_ci_u32_e32 v6, vcc_lo, 0, v2, vcc_lo
	global_load_dwordx2 v[77:78], v[5:6], off
.LBB7_83:
	s_or_b32 exec_lo, exec_lo, s0
	v_or_b32_e32 v5, 0x2600, v0
                                        ; implicit-def: $vgpr79_vgpr80
	v_cmp_gt_u32_e64 s39, s29, v5
	s_and_saveexec_b32 s0, s39
	s_cbranch_execz .LBB7_85
; %bb.84:
	v_add_co_u32 v5, vcc_lo, 0x13000, v1
	v_add_co_ci_u32_e32 v6, vcc_lo, 0, v2, vcc_lo
	global_load_dwordx2 v[79:80], v[5:6], off
.LBB7_85:
	s_or_b32 exec_lo, exec_lo, s0
	v_or_b32_e32 v5, 0x2700, v0
                                        ; implicit-def: $vgpr81_vgpr82
	v_cmp_gt_u32_e64 s40, s29, v5
	s_and_saveexec_b32 s0, s40
	s_cbranch_execz .LBB7_87
; %bb.86:
	v_add_co_u32 v5, vcc_lo, 0x13800, v1
	v_add_co_ci_u32_e32 v6, vcc_lo, 0, v2, vcc_lo
	global_load_dwordx2 v[81:82], v[5:6], off
.LBB7_87:
	s_or_b32 exec_lo, exec_lo, s0
	v_or_b32_e32 v5, 0x2800, v0
                                        ; implicit-def: $vgpr83_vgpr84
	v_cmp_gt_u32_e64 s41, s29, v5
	s_and_saveexec_b32 s0, s41
	s_cbranch_execz .LBB7_89
; %bb.88:
	v_add_co_u32 v5, vcc_lo, 0x14000, v1
	v_add_co_ci_u32_e32 v6, vcc_lo, 0, v2, vcc_lo
	global_load_dwordx2 v[83:84], v[5:6], off
.LBB7_89:
	s_or_b32 exec_lo, exec_lo, s0
	v_or_b32_e32 v5, 0x2900, v0
                                        ; implicit-def: $vgpr85_vgpr86
	v_cmp_gt_u32_e64 s42, s29, v5
	s_and_saveexec_b32 s0, s42
	s_cbranch_execz .LBB7_91
; %bb.90:
	v_add_co_u32 v5, vcc_lo, 0x14800, v1
	v_add_co_ci_u32_e32 v6, vcc_lo, 0, v2, vcc_lo
	global_load_dwordx2 v[85:86], v[5:6], off
.LBB7_91:
	s_or_b32 exec_lo, exec_lo, s0
	v_or_b32_e32 v5, 0x2a00, v0
                                        ; implicit-def: $vgpr87_vgpr88
	v_cmp_gt_u32_e64 s43, s29, v5
	s_and_saveexec_b32 s0, s43
	s_cbranch_execz .LBB7_93
; %bb.92:
	v_add_co_u32 v5, vcc_lo, 0x15000, v1
	v_add_co_ci_u32_e32 v6, vcc_lo, 0, v2, vcc_lo
	global_load_dwordx2 v[87:88], v[5:6], off
.LBB7_93:
	s_or_b32 exec_lo, exec_lo, s0
	v_or_b32_e32 v5, 0x2b00, v0
                                        ; implicit-def: $vgpr89_vgpr90
	v_cmp_gt_u32_e64 s44, s29, v5
	s_and_saveexec_b32 s0, s44
	s_cbranch_execz .LBB7_95
; %bb.94:
	v_add_co_u32 v5, vcc_lo, 0x15800, v1
	v_add_co_ci_u32_e32 v6, vcc_lo, 0, v2, vcc_lo
	global_load_dwordx2 v[89:90], v[5:6], off
.LBB7_95:
	s_or_b32 exec_lo, exec_lo, s0
	v_or_b32_e32 v5, 0x2c00, v0
                                        ; implicit-def: $vgpr91_vgpr92
	v_cmp_gt_u32_e64 s45, s29, v5
	s_and_saveexec_b32 s0, s45
	s_cbranch_execz .LBB7_97
; %bb.96:
	v_add_co_u32 v5, vcc_lo, 0x16000, v1
	v_add_co_ci_u32_e32 v6, vcc_lo, 0, v2, vcc_lo
	global_load_dwordx2 v[91:92], v[5:6], off
.LBB7_97:
	s_or_b32 exec_lo, exec_lo, s0
	v_or_b32_e32 v5, 0x2d00, v0
                                        ; implicit-def: $vgpr93_vgpr94
	v_cmp_gt_u32_e64 s46, s29, v5
	s_and_saveexec_b32 s0, s46
	s_cbranch_execz .LBB7_99
; %bb.98:
	v_add_co_u32 v5, vcc_lo, 0x16800, v1
	v_add_co_ci_u32_e32 v6, vcc_lo, 0, v2, vcc_lo
	global_load_dwordx2 v[93:94], v[5:6], off
.LBB7_99:
	s_or_b32 exec_lo, exec_lo, s0
	v_or_b32_e32 v5, 0x2e00, v0
                                        ; implicit-def: $vgpr95_vgpr96
	v_cmp_gt_u32_e64 s47, s29, v5
	s_and_saveexec_b32 s0, s47
	s_cbranch_execz .LBB7_101
; %bb.100:
	v_add_co_u32 v5, vcc_lo, 0x17000, v1
	v_add_co_ci_u32_e32 v6, vcc_lo, 0, v2, vcc_lo
	global_load_dwordx2 v[95:96], v[5:6], off
.LBB7_101:
	s_or_b32 exec_lo, exec_lo, s0
	v_or_b32_e32 v5, 0x2f00, v0
                                        ; implicit-def: $vgpr97_vgpr98
	v_cmp_gt_u32_e64 s48, s29, v5
	s_and_saveexec_b32 s0, s48
	s_cbranch_execz .LBB7_103
; %bb.102:
	v_add_co_u32 v5, vcc_lo, 0x17800, v1
	v_add_co_ci_u32_e32 v6, vcc_lo, 0, v2, vcc_lo
	global_load_dwordx2 v[97:98], v[5:6], off
.LBB7_103:
	s_or_b32 exec_lo, exec_lo, s0
	v_or_b32_e32 v5, 0x3000, v0
                                        ; implicit-def: $vgpr99_vgpr100
	v_cmp_gt_u32_e64 s49, s29, v5
	s_and_saveexec_b32 s0, s49
	s_cbranch_execz .LBB7_105
; %bb.104:
	v_add_co_u32 v5, vcc_lo, 0x18000, v1
	v_add_co_ci_u32_e32 v6, vcc_lo, 0, v2, vcc_lo
	global_load_dwordx2 v[99:100], v[5:6], off
.LBB7_105:
	s_or_b32 exec_lo, exec_lo, s0
	v_or_b32_e32 v5, 0x3100, v0
                                        ; implicit-def: $vgpr101_vgpr102
	v_cmp_gt_u32_e64 s50, s29, v5
	s_and_saveexec_b32 s0, s50
	s_cbranch_execz .LBB7_107
; %bb.106:
	v_add_co_u32 v5, vcc_lo, 0x18800, v1
	v_add_co_ci_u32_e32 v6, vcc_lo, 0, v2, vcc_lo
	global_load_dwordx2 v[101:102], v[5:6], off
.LBB7_107:
	s_or_b32 exec_lo, exec_lo, s0
	v_or_b32_e32 v5, 0x3200, v0
                                        ; implicit-def: $vgpr103_vgpr104
	v_cmp_gt_u32_e64 s51, s29, v5
	s_and_saveexec_b32 s0, s51
	s_cbranch_execz .LBB7_109
; %bb.108:
	v_add_co_u32 v5, vcc_lo, 0x19000, v1
	v_add_co_ci_u32_e32 v6, vcc_lo, 0, v2, vcc_lo
	global_load_dwordx2 v[103:104], v[5:6], off
.LBB7_109:
	s_or_b32 exec_lo, exec_lo, s0
	v_or_b32_e32 v5, 0x3300, v0
                                        ; implicit-def: $vgpr105_vgpr106
	v_cmp_gt_u32_e64 s52, s29, v5
	s_and_saveexec_b32 s0, s52
	s_cbranch_execz .LBB7_111
; %bb.110:
	v_add_co_u32 v5, vcc_lo, 0x19800, v1
	v_add_co_ci_u32_e32 v6, vcc_lo, 0, v2, vcc_lo
	global_load_dwordx2 v[105:106], v[5:6], off
.LBB7_111:
	s_or_b32 exec_lo, exec_lo, s0
	v_or_b32_e32 v5, 0x3400, v0
                                        ; implicit-def: $vgpr107_vgpr108
	v_cmp_gt_u32_e64 s53, s29, v5
	s_and_saveexec_b32 s0, s53
	s_cbranch_execz .LBB7_113
; %bb.112:
	v_add_co_u32 v5, vcc_lo, 0x1a000, v1
	v_add_co_ci_u32_e32 v6, vcc_lo, 0, v2, vcc_lo
	global_load_dwordx2 v[107:108], v[5:6], off
.LBB7_113:
	s_or_b32 exec_lo, exec_lo, s0
	v_or_b32_e32 v5, 0x3500, v0
                                        ; implicit-def: $vgpr109_vgpr110
	v_cmp_gt_u32_e64 s54, s29, v5
	s_and_saveexec_b32 s0, s54
	s_cbranch_execz .LBB7_115
; %bb.114:
	v_add_co_u32 v5, vcc_lo, 0x1a800, v1
	v_add_co_ci_u32_e32 v6, vcc_lo, 0, v2, vcc_lo
	global_load_dwordx2 v[109:110], v[5:6], off
.LBB7_115:
	s_or_b32 exec_lo, exec_lo, s0
	v_or_b32_e32 v5, 0x3600, v0
                                        ; implicit-def: $vgpr111_vgpr112
	v_cmp_gt_u32_e64 s55, s29, v5
	s_and_saveexec_b32 s0, s55
	s_cbranch_execz .LBB7_117
; %bb.116:
	v_add_co_u32 v5, vcc_lo, 0x1b000, v1
	v_add_co_ci_u32_e32 v6, vcc_lo, 0, v2, vcc_lo
	global_load_dwordx2 v[111:112], v[5:6], off
.LBB7_117:
	s_or_b32 exec_lo, exec_lo, s0
	v_or_b32_e32 v5, 0x3700, v0
                                        ; implicit-def: $vgpr113_vgpr114
	v_cmp_gt_u32_e64 s56, s29, v5
	s_and_saveexec_b32 s0, s56
	s_cbranch_execz .LBB7_119
; %bb.118:
	v_add_co_u32 v5, vcc_lo, 0x1b800, v1
	v_add_co_ci_u32_e32 v6, vcc_lo, 0, v2, vcc_lo
	global_load_dwordx2 v[113:114], v[5:6], off
.LBB7_119:
	s_or_b32 exec_lo, exec_lo, s0
	v_or_b32_e32 v5, 0x3800, v0
                                        ; implicit-def: $vgpr115_vgpr116
	v_cmp_gt_u32_e64 s57, s29, v5
	s_and_saveexec_b32 s0, s57
	s_cbranch_execz .LBB7_121
; %bb.120:
	v_add_co_u32 v5, vcc_lo, 0x1c000, v1
	v_add_co_ci_u32_e32 v6, vcc_lo, 0, v2, vcc_lo
	global_load_dwordx2 v[115:116], v[5:6], off
.LBB7_121:
	s_or_b32 exec_lo, exec_lo, s0
	v_or_b32_e32 v5, 0x3900, v0
                                        ; implicit-def: $vgpr117_vgpr118
	v_cmp_gt_u32_e64 s58, s29, v5
	s_and_saveexec_b32 s0, s58
	s_cbranch_execz .LBB7_123
; %bb.122:
	v_add_co_u32 v5, vcc_lo, 0x1c800, v1
	v_add_co_ci_u32_e32 v6, vcc_lo, 0, v2, vcc_lo
	global_load_dwordx2 v[117:118], v[5:6], off
.LBB7_123:
	s_or_b32 exec_lo, exec_lo, s0
	v_or_b32_e32 v5, 0x3a00, v0
                                        ; implicit-def: $vgpr119_vgpr120
	v_cmp_gt_u32_e64 s59, s29, v5
	s_and_saveexec_b32 s0, s59
	s_cbranch_execz .LBB7_125
; %bb.124:
	v_add_co_u32 v5, vcc_lo, 0x1d000, v1
	v_add_co_ci_u32_e32 v6, vcc_lo, 0, v2, vcc_lo
	global_load_dwordx2 v[119:120], v[5:6], off
.LBB7_125:
	s_or_b32 exec_lo, exec_lo, s0
	v_or_b32_e32 v5, 0x3b00, v0
                                        ; implicit-def: $vgpr121_vgpr122
	v_cmp_gt_u32_e64 s60, s29, v5
	s_and_saveexec_b32 s0, s60
	s_cbranch_execz .LBB7_127
; %bb.126:
	v_add_co_u32 v5, vcc_lo, 0x1d800, v1
	v_add_co_ci_u32_e32 v6, vcc_lo, 0, v2, vcc_lo
	global_load_dwordx2 v[121:122], v[5:6], off
.LBB7_127:
	s_or_b32 exec_lo, exec_lo, s0
	v_or_b32_e32 v5, 0x3c00, v0
                                        ; implicit-def: $vgpr123_vgpr124
	v_cmp_gt_u32_e64 s61, s29, v5
	s_and_saveexec_b32 s0, s61
	s_cbranch_execz .LBB7_129
; %bb.128:
	v_add_co_u32 v5, vcc_lo, 0x1e000, v1
	v_add_co_ci_u32_e32 v6, vcc_lo, 0, v2, vcc_lo
	global_load_dwordx2 v[123:124], v[5:6], off
.LBB7_129:
	s_or_b32 exec_lo, exec_lo, s0
	v_or_b32_e32 v5, 0x3d00, v0
                                        ; implicit-def: $vgpr125_vgpr126
	v_cmp_gt_u32_e64 s62, s29, v5
	s_and_saveexec_b32 s0, s62
	s_cbranch_execz .LBB7_131
; %bb.130:
	v_add_co_u32 v5, vcc_lo, 0x1e800, v1
	v_add_co_ci_u32_e32 v6, vcc_lo, 0, v2, vcc_lo
	global_load_dwordx2 v[125:126], v[5:6], off
.LBB7_131:
	s_or_b32 exec_lo, exec_lo, s0
	v_or_b32_e32 v5, 0x3e00, v0
                                        ; implicit-def: $vgpr127_vgpr128
	v_cmp_gt_u32_e64 s63, s29, v5
	s_and_saveexec_b32 s0, s63
	s_cbranch_execz .LBB7_133
; %bb.132:
	v_add_co_u32 v5, vcc_lo, 0x1f000, v1
	v_add_co_ci_u32_e32 v6, vcc_lo, 0, v2, vcc_lo
	global_load_dwordx2 v[127:128], v[5:6], off
.LBB7_133:
	s_or_b32 exec_lo, exec_lo, s0
	v_or_b32_e32 v5, 0x3f00, v0
                                        ; implicit-def: $vgpr129_vgpr130
	v_cmp_gt_u32_e64 s64, s29, v5
	s_and_saveexec_b32 s0, s64
	s_cbranch_execz .LBB7_135
; %bb.134:
	v_add_co_u32 v5, vcc_lo, 0x1f800, v1
	v_add_co_ci_u32_e32 v6, vcc_lo, 0, v2, vcc_lo
	global_load_dwordx2 v[129:130], v[5:6], off
.LBB7_135:
	s_or_b32 exec_lo, exec_lo, s0
	v_or_b32_e32 v5, 0x4000, v0
                                        ; implicit-def: $vgpr131_vgpr132
	v_cmp_gt_u32_e64 s65, s29, v5
	s_and_saveexec_b32 s0, s65
	s_cbranch_execz .LBB7_137
; %bb.136:
	v_add_co_u32 v5, vcc_lo, 0x20000, v1
	v_add_co_ci_u32_e32 v6, vcc_lo, 0, v2, vcc_lo
	global_load_dwordx2 v[131:132], v[5:6], off
.LBB7_137:
	s_or_b32 exec_lo, exec_lo, s0
	v_or_b32_e32 v5, 0x4100, v0
                                        ; implicit-def: $vgpr133_vgpr134
	v_cmp_gt_u32_e64 s66, s29, v5
	s_and_saveexec_b32 s0, s66
	s_cbranch_execz .LBB7_139
; %bb.138:
	v_add_co_u32 v5, vcc_lo, 0x20800, v1
	v_add_co_ci_u32_e32 v6, vcc_lo, 0, v2, vcc_lo
	global_load_dwordx2 v[133:134], v[5:6], off
.LBB7_139:
	s_or_b32 exec_lo, exec_lo, s0
	v_or_b32_e32 v5, 0x4200, v0
                                        ; implicit-def: $vgpr135_vgpr136
	v_cmp_gt_u32_e64 s67, s29, v5
	s_and_saveexec_b32 s0, s67
	s_cbranch_execz .LBB7_141
; %bb.140:
	v_add_co_u32 v5, vcc_lo, 0x21000, v1
	v_add_co_ci_u32_e32 v6, vcc_lo, 0, v2, vcc_lo
	global_load_dwordx2 v[135:136], v[5:6], off
.LBB7_141:
	s_or_b32 exec_lo, exec_lo, s0
	v_or_b32_e32 v5, 0x4300, v0
                                        ; implicit-def: $vgpr137_vgpr138
	v_cmp_gt_u32_e64 s68, s29, v5
	s_and_saveexec_b32 s0, s68
	s_cbranch_execz .LBB7_143
; %bb.142:
	v_add_co_u32 v5, vcc_lo, 0x21800, v1
	v_add_co_ci_u32_e32 v6, vcc_lo, 0, v2, vcc_lo
	global_load_dwordx2 v[137:138], v[5:6], off
.LBB7_143:
	s_or_b32 exec_lo, exec_lo, s0
	v_or_b32_e32 v5, 0x4400, v0
                                        ; implicit-def: $vgpr139_vgpr140
	v_cmp_gt_u32_e64 s69, s29, v5
	s_and_saveexec_b32 s0, s69
	s_cbranch_execz .LBB7_145
; %bb.144:
	v_add_co_u32 v5, vcc_lo, 0x22000, v1
	v_add_co_ci_u32_e32 v6, vcc_lo, 0, v2, vcc_lo
	global_load_dwordx2 v[139:140], v[5:6], off
.LBB7_145:
	s_or_b32 exec_lo, exec_lo, s0
	v_or_b32_e32 v5, 0x4500, v0
                                        ; implicit-def: $vgpr141_vgpr142
	v_cmp_gt_u32_e64 s70, s29, v5
	s_and_saveexec_b32 s0, s70
	s_cbranch_execz .LBB7_147
; %bb.146:
	v_add_co_u32 v5, vcc_lo, 0x22800, v1
	v_add_co_ci_u32_e32 v6, vcc_lo, 0, v2, vcc_lo
	global_load_dwordx2 v[141:142], v[5:6], off
.LBB7_147:
	s_or_b32 exec_lo, exec_lo, s0
	v_or_b32_e32 v5, 0x4600, v0
                                        ; implicit-def: $vgpr143_vgpr144
	v_cmp_gt_u32_e64 s71, s29, v5
	s_and_saveexec_b32 s0, s71
	s_cbranch_execz .LBB7_149
; %bb.148:
	v_add_co_u32 v5, vcc_lo, 0x23000, v1
	v_add_co_ci_u32_e32 v6, vcc_lo, 0, v2, vcc_lo
	global_load_dwordx2 v[143:144], v[5:6], off
.LBB7_149:
	s_or_b32 exec_lo, exec_lo, s0
	v_or_b32_e32 v5, 0x4700, v0
                                        ; implicit-def: $vgpr145_vgpr146
	v_cmp_gt_u32_e64 s72, s29, v5
	s_and_saveexec_b32 s0, s72
	s_cbranch_execz .LBB7_151
; %bb.150:
	v_add_co_u32 v5, vcc_lo, 0x23800, v1
	v_add_co_ci_u32_e32 v6, vcc_lo, 0, v2, vcc_lo
	global_load_dwordx2 v[145:146], v[5:6], off
.LBB7_151:
	s_or_b32 exec_lo, exec_lo, s0
	v_or_b32_e32 v5, 0x4800, v0
                                        ; implicit-def: $vgpr147_vgpr148
	v_cmp_gt_u32_e64 s73, s29, v5
	s_and_saveexec_b32 s0, s73
	s_cbranch_execz .LBB7_153
; %bb.152:
	v_add_co_u32 v5, vcc_lo, 0x24000, v1
	v_add_co_ci_u32_e32 v6, vcc_lo, 0, v2, vcc_lo
	global_load_dwordx2 v[147:148], v[5:6], off
.LBB7_153:
	s_or_b32 exec_lo, exec_lo, s0
	v_or_b32_e32 v5, 0x4900, v0
                                        ; implicit-def: $vgpr149_vgpr150
	v_cmp_gt_u32_e64 s74, s29, v5
	s_and_saveexec_b32 s0, s74
	s_cbranch_execz .LBB7_155
; %bb.154:
	v_add_co_u32 v5, vcc_lo, 0x24800, v1
	v_add_co_ci_u32_e32 v6, vcc_lo, 0, v2, vcc_lo
	global_load_dwordx2 v[149:150], v[5:6], off
.LBB7_155:
	s_or_b32 exec_lo, exec_lo, s0
	v_or_b32_e32 v5, 0x4a00, v0
                                        ; implicit-def: $vgpr151_vgpr152
	v_cmp_gt_u32_e64 s75, s29, v5
	s_and_saveexec_b32 s0, s75
	s_cbranch_execz .LBB7_157
; %bb.156:
	v_add_co_u32 v5, vcc_lo, 0x25000, v1
	v_add_co_ci_u32_e32 v6, vcc_lo, 0, v2, vcc_lo
	global_load_dwordx2 v[151:152], v[5:6], off
.LBB7_157:
	s_or_b32 exec_lo, exec_lo, s0
	v_or_b32_e32 v5, 0x4b00, v0
                                        ; implicit-def: $vgpr153_vgpr154
	v_cmp_gt_u32_e64 s76, s29, v5
	s_and_saveexec_b32 s0, s76
	s_cbranch_execz .LBB7_159
; %bb.158:
	v_add_co_u32 v5, vcc_lo, 0x25800, v1
	v_add_co_ci_u32_e32 v6, vcc_lo, 0, v2, vcc_lo
	global_load_dwordx2 v[153:154], v[5:6], off
.LBB7_159:
	s_or_b32 exec_lo, exec_lo, s0
	v_or_b32_e32 v5, 0x4c00, v0
                                        ; implicit-def: $vgpr155_vgpr156
	v_cmp_gt_u32_e64 s77, s29, v5
	s_and_saveexec_b32 s0, s77
	s_cbranch_execz .LBB7_161
; %bb.160:
	v_add_co_u32 v5, vcc_lo, 0x26000, v1
	v_add_co_ci_u32_e32 v6, vcc_lo, 0, v2, vcc_lo
	global_load_dwordx2 v[155:156], v[5:6], off
.LBB7_161:
	s_or_b32 exec_lo, exec_lo, s0
	v_or_b32_e32 v5, 0x4d00, v0
                                        ; implicit-def: $vgpr157_vgpr158
	v_cmp_gt_u32_e64 s78, s29, v5
	s_and_saveexec_b32 s0, s78
	s_cbranch_execz .LBB7_163
; %bb.162:
	v_add_co_u32 v5, vcc_lo, 0x26800, v1
	v_add_co_ci_u32_e32 v6, vcc_lo, 0, v2, vcc_lo
	global_load_dwordx2 v[157:158], v[5:6], off
.LBB7_163:
	s_or_b32 exec_lo, exec_lo, s0
	v_or_b32_e32 v5, 0x4e00, v0
                                        ; implicit-def: $vgpr159_vgpr160
	v_cmp_gt_u32_e64 s79, s29, v5
	s_and_saveexec_b32 s0, s79
	s_cbranch_execz .LBB7_165
; %bb.164:
	v_add_co_u32 v5, vcc_lo, 0x27000, v1
	v_add_co_ci_u32_e32 v6, vcc_lo, 0, v2, vcc_lo
	global_load_dwordx2 v[159:160], v[5:6], off
.LBB7_165:
	s_or_b32 exec_lo, exec_lo, s0
	v_or_b32_e32 v5, 0x4f00, v0
                                        ; implicit-def: $vgpr161_vgpr162
	v_cmp_gt_u32_e64 s80, s29, v5
	s_and_saveexec_b32 s0, s80
	s_cbranch_execz .LBB7_167
; %bb.166:
	v_add_co_u32 v5, vcc_lo, 0x27800, v1
	v_add_co_ci_u32_e32 v6, vcc_lo, 0, v2, vcc_lo
	global_load_dwordx2 v[161:162], v[5:6], off
.LBB7_167:
	s_or_b32 exec_lo, exec_lo, s0
	v_or_b32_e32 v5, 0x5000, v0
                                        ; implicit-def: $vgpr163_vgpr164
	v_cmp_gt_u32_e64 s81, s29, v5
	s_and_saveexec_b32 s0, s81
	s_cbranch_execz .LBB7_169
; %bb.168:
	v_add_co_u32 v5, vcc_lo, 0x28000, v1
	v_add_co_ci_u32_e32 v6, vcc_lo, 0, v2, vcc_lo
	global_load_dwordx2 v[163:164], v[5:6], off
.LBB7_169:
	s_or_b32 exec_lo, exec_lo, s0
	v_or_b32_e32 v5, 0x5100, v0
                                        ; implicit-def: $vgpr165_vgpr166
	v_cmp_gt_u32_e64 s82, s29, v5
	s_and_saveexec_b32 s0, s82
	s_cbranch_execz .LBB7_171
; %bb.170:
	v_add_co_u32 v5, vcc_lo, 0x28800, v1
	v_add_co_ci_u32_e32 v6, vcc_lo, 0, v2, vcc_lo
	global_load_dwordx2 v[165:166], v[5:6], off
.LBB7_171:
	s_or_b32 exec_lo, exec_lo, s0
	v_or_b32_e32 v5, 0x5200, v0
                                        ; implicit-def: $vgpr167_vgpr168
	v_cmp_gt_u32_e64 s83, s29, v5
	s_and_saveexec_b32 s0, s83
	s_cbranch_execz .LBB7_173
; %bb.172:
	v_add_co_u32 v5, vcc_lo, 0x29000, v1
	v_add_co_ci_u32_e32 v6, vcc_lo, 0, v2, vcc_lo
	global_load_dwordx2 v[167:168], v[5:6], off
.LBB7_173:
	s_or_b32 exec_lo, exec_lo, s0
	v_or_b32_e32 v5, 0x5300, v0
                                        ; implicit-def: $vgpr169_vgpr170
	v_cmp_gt_u32_e64 s84, s29, v5
	s_and_saveexec_b32 s0, s84
	s_cbranch_execz .LBB7_175
; %bb.174:
	v_add_co_u32 v5, vcc_lo, 0x29800, v1
	v_add_co_ci_u32_e32 v6, vcc_lo, 0, v2, vcc_lo
	global_load_dwordx2 v[169:170], v[5:6], off
.LBB7_175:
	s_or_b32 exec_lo, exec_lo, s0
	v_or_b32_e32 v5, 0x5400, v0
                                        ; implicit-def: $vgpr171_vgpr172
	v_cmp_gt_u32_e64 s85, s29, v5
	s_and_saveexec_b32 s0, s85
	s_cbranch_execz .LBB7_177
; %bb.176:
	v_add_co_u32 v5, vcc_lo, 0x2a000, v1
	v_add_co_ci_u32_e32 v6, vcc_lo, 0, v2, vcc_lo
	global_load_dwordx2 v[171:172], v[5:6], off
.LBB7_177:
	s_or_b32 exec_lo, exec_lo, s0
	v_or_b32_e32 v5, 0x5500, v0
                                        ; implicit-def: $vgpr173_vgpr174
	v_cmp_gt_u32_e64 s86, s29, v5
	s_and_saveexec_b32 s0, s86
	s_cbranch_execz .LBB7_179
; %bb.178:
	v_add_co_u32 v5, vcc_lo, 0x2a800, v1
	v_add_co_ci_u32_e32 v6, vcc_lo, 0, v2, vcc_lo
	global_load_dwordx2 v[173:174], v[5:6], off
.LBB7_179:
	s_or_b32 exec_lo, exec_lo, s0
	v_or_b32_e32 v5, 0x5600, v0
                                        ; implicit-def: $vgpr175_vgpr176
	v_cmp_gt_u32_e64 s87, s29, v5
	s_and_saveexec_b32 s0, s87
	s_cbranch_execz .LBB7_181
; %bb.180:
	v_add_co_u32 v5, vcc_lo, 0x2b000, v1
	v_add_co_ci_u32_e32 v6, vcc_lo, 0, v2, vcc_lo
	global_load_dwordx2 v[175:176], v[5:6], off
.LBB7_181:
	s_or_b32 exec_lo, exec_lo, s0
	v_or_b32_e32 v5, 0x5700, v0
                                        ; implicit-def: $vgpr177_vgpr178
	v_cmp_gt_u32_e64 s88, s29, v5
	s_and_saveexec_b32 s0, s88
	s_cbranch_execz .LBB7_183
; %bb.182:
	v_add_co_u32 v5, vcc_lo, 0x2b800, v1
	v_add_co_ci_u32_e32 v6, vcc_lo, 0, v2, vcc_lo
	global_load_dwordx2 v[177:178], v[5:6], off
.LBB7_183:
	s_or_b32 exec_lo, exec_lo, s0
	v_or_b32_e32 v5, 0x5800, v0
                                        ; implicit-def: $vgpr179_vgpr180
	v_cmp_gt_u32_e64 s89, s29, v5
	s_and_saveexec_b32 s0, s89
	s_cbranch_execz .LBB7_185
; %bb.184:
	v_add_co_u32 v5, vcc_lo, 0x2c000, v1
	v_add_co_ci_u32_e32 v6, vcc_lo, 0, v2, vcc_lo
	global_load_dwordx2 v[179:180], v[5:6], off
.LBB7_185:
	s_or_b32 exec_lo, exec_lo, s0
	v_or_b32_e32 v5, 0x5900, v0
                                        ; implicit-def: $vgpr181_vgpr182
	v_cmp_gt_u32_e64 s90, s29, v5
	s_and_saveexec_b32 s0, s90
	s_cbranch_execz .LBB7_187
; %bb.186:
	v_add_co_u32 v5, vcc_lo, 0x2c800, v1
	v_add_co_ci_u32_e32 v6, vcc_lo, 0, v2, vcc_lo
	global_load_dwordx2 v[181:182], v[5:6], off
.LBB7_187:
	s_or_b32 exec_lo, exec_lo, s0
	v_or_b32_e32 v5, 0x5a00, v0
                                        ; implicit-def: $vgpr183_vgpr184
	v_cmp_gt_u32_e64 s91, s29, v5
	s_and_saveexec_b32 s0, s91
	s_cbranch_execz .LBB7_189
; %bb.188:
	v_add_co_u32 v5, vcc_lo, 0x2d000, v1
	v_add_co_ci_u32_e32 v6, vcc_lo, 0, v2, vcc_lo
	global_load_dwordx2 v[183:184], v[5:6], off
.LBB7_189:
	s_or_b32 exec_lo, exec_lo, s0
	v_or_b32_e32 v5, 0x5b00, v0
                                        ; implicit-def: $vgpr185_vgpr186
	v_cmp_gt_u32_e64 s92, s29, v5
	s_and_saveexec_b32 s0, s92
	s_cbranch_execz .LBB7_191
; %bb.190:
	v_add_co_u32 v5, vcc_lo, 0x2d800, v1
	v_add_co_ci_u32_e32 v6, vcc_lo, 0, v2, vcc_lo
	global_load_dwordx2 v[185:186], v[5:6], off
.LBB7_191:
	s_or_b32 exec_lo, exec_lo, s0
	v_or_b32_e32 v5, 0x5c00, v0
                                        ; implicit-def: $vgpr187_vgpr188
	v_cmp_gt_u32_e64 s93, s29, v5
	s_and_saveexec_b32 s0, s93
	s_cbranch_execz .LBB7_193
; %bb.192:
	v_add_co_u32 v5, vcc_lo, 0x2e000, v1
	v_add_co_ci_u32_e32 v6, vcc_lo, 0, v2, vcc_lo
	global_load_dwordx2 v[187:188], v[5:6], off
.LBB7_193:
	s_or_b32 exec_lo, exec_lo, s0
	v_or_b32_e32 v5, 0x5d00, v0
                                        ; implicit-def: $vgpr189_vgpr190
	v_cmp_gt_u32_e64 s94, s29, v5
	s_and_saveexec_b32 s0, s94
	s_cbranch_execz .LBB7_195
; %bb.194:
	v_add_co_u32 v5, vcc_lo, 0x2e800, v1
	v_add_co_ci_u32_e32 v6, vcc_lo, 0, v2, vcc_lo
	global_load_dwordx2 v[189:190], v[5:6], off
.LBB7_195:
	s_or_b32 exec_lo, exec_lo, s0
	v_or_b32_e32 v5, 0x5e00, v0
                                        ; implicit-def: $vgpr191_vgpr192
	v_cmp_gt_u32_e64 s95, s29, v5
	s_and_saveexec_b32 s0, s95
	s_cbranch_execz .LBB7_197
; %bb.196:
	v_add_co_u32 v5, vcc_lo, 0x2f000, v1
	v_add_co_ci_u32_e32 v6, vcc_lo, 0, v2, vcc_lo
	global_load_dwordx2 v[191:192], v[5:6], off
.LBB7_197:
	s_or_b32 exec_lo, exec_lo, s0
	v_or_b32_e32 v5, 0x5f00, v0
                                        ; implicit-def: $vgpr193_vgpr194
	v_cmp_gt_u32_e64 s96, s29, v5
	s_and_saveexec_b32 s0, s96
	s_cbranch_execz .LBB7_199
; %bb.198:
	v_add_co_u32 v5, vcc_lo, 0x2f800, v1
	v_add_co_ci_u32_e32 v6, vcc_lo, 0, v2, vcc_lo
	global_load_dwordx2 v[193:194], v[5:6], off
.LBB7_199:
	s_or_b32 exec_lo, exec_lo, s0
	v_or_b32_e32 v5, 0x6000, v0
                                        ; implicit-def: $vgpr195_vgpr196
	v_cmp_gt_u32_e64 s97, s29, v5
	s_and_saveexec_b32 s0, s97
	s_cbranch_execz .LBB7_201
; %bb.200:
	v_add_co_u32 v5, vcc_lo, 0x30000, v1
	v_add_co_ci_u32_e32 v6, vcc_lo, 0, v2, vcc_lo
	global_load_dwordx2 v[195:196], v[5:6], off
.LBB7_201:
	s_or_b32 exec_lo, exec_lo, s0
	v_or_b32_e32 v5, 0x6100, v0
                                        ; implicit-def: $vgpr197_vgpr198
	v_cmp_gt_u32_e64 s98, s29, v5
	s_and_saveexec_b32 s0, s98
	s_cbranch_execz .LBB7_203
; %bb.202:
	v_add_co_u32 v5, vcc_lo, 0x30800, v1
	v_add_co_ci_u32_e32 v6, vcc_lo, 0, v2, vcc_lo
	global_load_dwordx2 v[197:198], v[5:6], off
.LBB7_203:
	s_or_b32 exec_lo, exec_lo, s0
	v_or_b32_e32 v5, 0x6200, v0
                                        ; implicit-def: $vgpr199_vgpr200
	v_cmp_gt_u32_e64 s99, s29, v5
	s_and_saveexec_b32 s0, s99
	s_cbranch_execz .LBB7_205
; %bb.204:
	v_add_co_u32 v5, vcc_lo, 0x31000, v1
	v_add_co_ci_u32_e32 v6, vcc_lo, 0, v2, vcc_lo
	global_load_dwordx2 v[199:200], v[5:6], off
.LBB7_205:
	s_or_b32 exec_lo, exec_lo, s0
	v_or_b32_e32 v5, 0x6300, v0
                                        ; implicit-def: $vgpr201_vgpr202
	v_cmp_gt_u32_e64 s104, s29, v5
	s_and_saveexec_b32 s0, s104
	s_cbranch_execz .LBB7_207
; %bb.206:
	v_add_co_u32 v5, vcc_lo, 0x31800, v1
	v_add_co_ci_u32_e32 v6, vcc_lo, 0, v2, vcc_lo
	global_load_dwordx2 v[201:202], v[5:6], off
.LBB7_207:
	s_or_b32 exec_lo, exec_lo, s0
	v_or_b32_e32 v5, 0x6400, v0
                                        ; implicit-def: $vgpr203_vgpr204
	v_cmp_gt_u32_e64 vcc_hi, s29, v5
	s_and_saveexec_b32 s0, vcc_hi
	s_cbranch_execz .LBB7_209
; %bb.208:
	v_add_co_u32 v5, vcc_lo, 0x32000, v1
	v_add_co_ci_u32_e32 v6, vcc_lo, 0, v2, vcc_lo
	global_load_dwordx2 v[203:204], v[5:6], off
.LBB7_209:
	s_or_b32 exec_lo, exec_lo, s0
	v_or_b32_e32 v5, 0x6500, v0
                                        ; implicit-def: $vgpr205_vgpr206
	v_cmp_gt_u32_e64 s0, s29, v5
	s_and_saveexec_b32 s1, s0
	s_cbranch_execz .LBB7_211
; %bb.210:
	v_add_co_u32 v5, vcc_lo, 0x32800, v1
	v_add_co_ci_u32_e32 v6, vcc_lo, 0, v2, vcc_lo
	global_load_dwordx2 v[205:206], v[5:6], off
.LBB7_211:
	s_or_b32 exec_lo, exec_lo, s1
	v_or_b32_e32 v5, 0x6600, v0
                                        ; implicit-def: $vgpr207_vgpr208
	v_cmp_gt_u32_e64 s1, s29, v5
	s_and_saveexec_b32 s2, s1
	s_cbranch_execz .LBB7_213
; %bb.212:
	v_add_co_u32 v5, vcc_lo, 0x33000, v1
	v_add_co_ci_u32_e32 v6, vcc_lo, 0, v2, vcc_lo
	global_load_dwordx2 v[207:208], v[5:6], off
.LBB7_213:
	s_or_b32 exec_lo, exec_lo, s2
	v_or_b32_e32 v5, 0x6700, v0
                                        ; implicit-def: $vgpr209_vgpr210
	v_cmp_gt_u32_e64 s2, s29, v5
	s_and_saveexec_b32 s3, s2
	s_cbranch_execz .LBB7_215
; %bb.214:
	v_add_co_u32 v5, vcc_lo, 0x33800, v1
	v_add_co_ci_u32_e32 v6, vcc_lo, 0, v2, vcc_lo
	global_load_dwordx2 v[209:210], v[5:6], off
.LBB7_215:
	s_or_b32 exec_lo, exec_lo, s3
	v_or_b32_e32 v5, 0x6800, v0
                                        ; implicit-def: $vgpr211_vgpr212
	v_cmp_gt_u32_e64 s3, s29, v5
	s_and_saveexec_b32 s4, s3
	s_cbranch_execz .LBB7_217
; %bb.216:
	v_add_co_u32 v5, vcc_lo, 0x34000, v1
	v_add_co_ci_u32_e32 v6, vcc_lo, 0, v2, vcc_lo
	global_load_dwordx2 v[211:212], v[5:6], off
.LBB7_217:
	s_or_b32 exec_lo, exec_lo, s4
	v_or_b32_e32 v5, 0x6900, v0
                                        ; implicit-def: $vgpr213_vgpr214
	v_cmp_gt_u32_e64 s4, s29, v5
	s_and_saveexec_b32 s5, s4
	s_cbranch_execz .LBB7_219
; %bb.218:
	v_add_co_u32 v5, vcc_lo, 0x34800, v1
	v_add_co_ci_u32_e32 v6, vcc_lo, 0, v2, vcc_lo
	global_load_dwordx2 v[213:214], v[5:6], off
.LBB7_219:
	s_or_b32 exec_lo, exec_lo, s5
	v_or_b32_e32 v5, 0x6a00, v0
                                        ; implicit-def: $vgpr215_vgpr216
	v_cmp_gt_u32_e64 s5, s29, v5
	s_and_saveexec_b32 s8, s5
	s_cbranch_execz .LBB7_221
; %bb.220:
	v_add_co_u32 v5, vcc_lo, 0x35000, v1
	v_add_co_ci_u32_e32 v6, vcc_lo, 0, v2, vcc_lo
	global_load_dwordx2 v[215:216], v[5:6], off
.LBB7_221:
	s_or_b32 exec_lo, exec_lo, s8
	v_or_b32_e32 v5, 0x6b00, v0
                                        ; implicit-def: $vgpr217_vgpr218
	v_cmp_gt_u32_e64 s8, s29, v5
	s_and_saveexec_b32 s9, s8
	s_cbranch_execz .LBB7_223
; %bb.222:
	v_add_co_u32 v5, vcc_lo, 0x35800, v1
	v_add_co_ci_u32_e32 v6, vcc_lo, 0, v2, vcc_lo
	global_load_dwordx2 v[217:218], v[5:6], off
.LBB7_223:
	s_or_b32 exec_lo, exec_lo, s9
	v_or_b32_e32 v5, 0x6c00, v0
                                        ; implicit-def: $vgpr219_vgpr220
	v_cmp_gt_u32_e64 s9, s29, v5
	s_and_saveexec_b32 s10, s9
	s_cbranch_execz .LBB7_225
; %bb.224:
	v_add_co_u32 v5, vcc_lo, 0x36000, v1
	v_add_co_ci_u32_e32 v6, vcc_lo, 0, v2, vcc_lo
	global_load_dwordx2 v[219:220], v[5:6], off
.LBB7_225:
	s_or_b32 exec_lo, exec_lo, s10
	v_or_b32_e32 v5, 0x6d00, v0
                                        ; implicit-def: $vgpr221_vgpr222
	v_cmp_gt_u32_e64 s10, s29, v5
	s_and_saveexec_b32 s11, s10
	s_cbranch_execz .LBB7_227
; %bb.226:
	v_add_co_u32 v5, vcc_lo, 0x36800, v1
	v_add_co_ci_u32_e32 v6, vcc_lo, 0, v2, vcc_lo
	global_load_dwordx2 v[221:222], v[5:6], off
.LBB7_227:
	s_or_b32 exec_lo, exec_lo, s11
	v_or_b32_e32 v5, 0x6e00, v0
                                        ; implicit-def: $vgpr223_vgpr224
	v_cmp_gt_u32_e64 s11, s29, v5
	s_and_saveexec_b32 s12, s11
	s_cbranch_execz .LBB7_229
; %bb.228:
	v_add_co_u32 v5, vcc_lo, 0x37000, v1
	v_add_co_ci_u32_e32 v6, vcc_lo, 0, v2, vcc_lo
	global_load_dwordx2 v[223:224], v[5:6], off
.LBB7_229:
	s_or_b32 exec_lo, exec_lo, s12
	v_or_b32_e32 v5, 0x6f00, v0
                                        ; implicit-def: $vgpr225_vgpr226
	v_cmp_gt_u32_e64 s12, s29, v5
	s_and_saveexec_b32 s13, s12
	s_cbranch_execz .LBB7_231
; %bb.230:
	v_add_co_u32 v5, vcc_lo, 0x37800, v1
	v_add_co_ci_u32_e32 v6, vcc_lo, 0, v2, vcc_lo
	global_load_dwordx2 v[225:226], v[5:6], off
.LBB7_231:
	s_or_b32 exec_lo, exec_lo, s13
	v_or_b32_e32 v5, 0x7000, v0
                                        ; implicit-def: $vgpr227_vgpr228
	v_cmp_gt_u32_e64 s13, s29, v5
	s_and_saveexec_b32 s14, s13
	s_cbranch_execz .LBB7_233
; %bb.232:
	v_add_co_u32 v5, vcc_lo, 0x38000, v1
	v_add_co_ci_u32_e32 v6, vcc_lo, 0, v2, vcc_lo
	global_load_dwordx2 v[227:228], v[5:6], off
.LBB7_233:
	s_or_b32 exec_lo, exec_lo, s14
	v_or_b32_e32 v5, 0x7100, v0
                                        ; implicit-def: $vgpr229_vgpr230
	v_cmp_gt_u32_e64 s14, s29, v5
	s_and_saveexec_b32 s15, s14
	s_cbranch_execz .LBB7_235
; %bb.234:
	v_add_co_u32 v5, vcc_lo, 0x38800, v1
	v_add_co_ci_u32_e32 v6, vcc_lo, 0, v2, vcc_lo
	global_load_dwordx2 v[229:230], v[5:6], off
.LBB7_235:
	s_or_b32 exec_lo, exec_lo, s15
	v_or_b32_e32 v5, 0x7200, v0
                                        ; implicit-def: $vgpr231_vgpr232
	v_cmp_gt_u32_e64 s15, s29, v5
	s_and_saveexec_b32 s16, s15
	s_cbranch_execz .LBB7_237
; %bb.236:
	v_add_co_u32 v5, vcc_lo, 0x39000, v1
	v_add_co_ci_u32_e32 v6, vcc_lo, 0, v2, vcc_lo
	global_load_dwordx2 v[231:232], v[5:6], off
.LBB7_237:
	s_or_b32 exec_lo, exec_lo, s16
	v_or_b32_e32 v5, 0x7300, v0
                                        ; implicit-def: $vgpr233_vgpr234
	v_cmp_gt_u32_e64 s16, s29, v5
	s_and_saveexec_b32 s17, s16
	s_cbranch_execz .LBB7_239
; %bb.238:
	v_add_co_u32 v5, vcc_lo, 0x39800, v1
	v_add_co_ci_u32_e32 v6, vcc_lo, 0, v2, vcc_lo
	global_load_dwordx2 v[233:234], v[5:6], off
.LBB7_239:
	s_or_b32 exec_lo, exec_lo, s17
	v_or_b32_e32 v5, 0x7400, v0
                                        ; implicit-def: $vgpr235_vgpr236
	v_cmp_gt_u32_e64 s17, s29, v5
	s_and_saveexec_b32 s18, s17
	s_cbranch_execz .LBB7_241
; %bb.240:
	v_add_co_u32 v5, vcc_lo, 0x3a000, v1
	v_add_co_ci_u32_e32 v6, vcc_lo, 0, v2, vcc_lo
	global_load_dwordx2 v[235:236], v[5:6], off
.LBB7_241:
	s_or_b32 exec_lo, exec_lo, s18
	v_or_b32_e32 v5, 0x7500, v0
                                        ; implicit-def: $vgpr237_vgpr238
	v_cmp_gt_u32_e64 s18, s29, v5
	s_and_saveexec_b32 s19, s18
	s_cbranch_execz .LBB7_243
; %bb.242:
	v_add_co_u32 v5, vcc_lo, 0x3a800, v1
	v_add_co_ci_u32_e32 v6, vcc_lo, 0, v2, vcc_lo
	global_load_dwordx2 v[237:238], v[5:6], off
.LBB7_243:
	s_or_b32 exec_lo, exec_lo, s19
	v_or_b32_e32 v5, 0x7600, v0
                                        ; implicit-def: $vgpr239_vgpr240
	v_cmp_gt_u32_e64 s19, s29, v5
	s_and_saveexec_b32 s20, s19
	s_cbranch_execz .LBB7_245
; %bb.244:
	v_add_co_u32 v5, vcc_lo, 0x3b000, v1
	v_add_co_ci_u32_e32 v6, vcc_lo, 0, v2, vcc_lo
	global_load_dwordx2 v[239:240], v[5:6], off
.LBB7_245:
	s_or_b32 exec_lo, exec_lo, s20
	v_or_b32_e32 v5, 0x7700, v0
                                        ; implicit-def: $vgpr241_vgpr242
	v_cmp_gt_u32_e64 s20, s29, v5
	s_and_saveexec_b32 s21, s20
	s_cbranch_execz .LBB7_247
; %bb.246:
	v_add_co_u32 v5, vcc_lo, 0x3b800, v1
	v_add_co_ci_u32_e32 v6, vcc_lo, 0, v2, vcc_lo
	global_load_dwordx2 v[241:242], v[5:6], off
.LBB7_247:
	s_or_b32 exec_lo, exec_lo, s21
	v_or_b32_e32 v5, 0x7800, v0
                                        ; implicit-def: $vgpr243_vgpr244
	v_cmp_gt_u32_e64 s21, s29, v5
	s_and_saveexec_b32 s22, s21
	s_cbranch_execz .LBB7_249
; %bb.248:
	v_add_co_u32 v5, vcc_lo, 0x3c000, v1
	v_add_co_ci_u32_e32 v6, vcc_lo, 0, v2, vcc_lo
	global_load_dwordx2 v[243:244], v[5:6], off
.LBB7_249:
	s_or_b32 exec_lo, exec_lo, s22
	v_or_b32_e32 v5, 0x7900, v0
                                        ; implicit-def: $vgpr245_vgpr246
	v_cmp_gt_u32_e64 s22, s29, v5
	s_and_saveexec_b32 s23, s22
	s_cbranch_execz .LBB7_251
; %bb.250:
	v_add_co_u32 v5, vcc_lo, 0x3c800, v1
	v_add_co_ci_u32_e32 v6, vcc_lo, 0, v2, vcc_lo
	global_load_dwordx2 v[245:246], v[5:6], off
.LBB7_251:
	s_or_b32 exec_lo, exec_lo, s23
	v_or_b32_e32 v5, 0x7a00, v0
                                        ; implicit-def: $vgpr247_vgpr248
	v_cmp_gt_u32_e64 s23, s29, v5
	s_and_saveexec_b32 s24, s23
	s_cbranch_execz .LBB7_253
; %bb.252:
	v_add_co_u32 v5, vcc_lo, 0x3d000, v1
	v_add_co_ci_u32_e32 v6, vcc_lo, 0, v2, vcc_lo
	global_load_dwordx2 v[247:248], v[5:6], off
.LBB7_253:
	s_or_b32 exec_lo, exec_lo, s24
	v_or_b32_e32 v5, 0x7b00, v0
                                        ; implicit-def: $vgpr249_vgpr250
	v_cmp_gt_u32_e64 s24, s29, v5
	s_and_saveexec_b32 s25, s24
	s_cbranch_execz .LBB7_255
; %bb.254:
	v_add_co_u32 v5, vcc_lo, 0x3d800, v1
	v_add_co_ci_u32_e32 v6, vcc_lo, 0, v2, vcc_lo
	global_load_dwordx2 v[249:250], v[5:6], off
.LBB7_255:
	s_or_b32 exec_lo, exec_lo, s25
	v_or_b32_e32 v5, 0x7c00, v0
                                        ; implicit-def: $vgpr251_vgpr252
	v_cmp_gt_u32_e64 s25, s29, v5
	s_and_saveexec_b32 s26, s25
	s_cbranch_execz .LBB7_257
; %bb.256:
	v_add_co_u32 v5, vcc_lo, 0x3e000, v1
	v_add_co_ci_u32_e32 v6, vcc_lo, 0, v2, vcc_lo
	global_load_dwordx2 v[251:252], v[5:6], off
.LBB7_257:
	s_or_b32 exec_lo, exec_lo, s26
	v_or_b32_e32 v5, 0x7d00, v0
	v_cmp_gt_u32_e64 s26, s29, v5
                                        ; implicit-def: $vgpr5_vgpr6
	s_and_saveexec_b32 s27, s26
	s_cbranch_execz .LBB7_259
; %bb.258:
	v_add_co_u32 v5, vcc_lo, 0x3e800, v1
	v_add_co_ci_u32_e32 v6, vcc_lo, 0, v2, vcc_lo
	global_load_dwordx2 v[5:6], v[5:6], off
.LBB7_259:
	s_or_b32 exec_lo, exec_lo, s27
	v_or_b32_e32 v7, 0x7e00, v0
	v_cmp_gt_u32_e64 s27, s29, v7
                                        ; implicit-def: $vgpr7_vgpr8
	s_and_saveexec_b32 s28, s27
	s_cbranch_execz .LBB7_261
; %bb.260:
	v_add_co_u32 v7, vcc_lo, 0x3f000, v1
	v_add_co_ci_u32_e32 v8, vcc_lo, 0, v2, vcc_lo
	global_load_dwordx2 v[7:8], v[7:8], off
.LBB7_261:
	s_or_b32 exec_lo, exec_lo, s28
	v_or_b32_e32 v9, 0x7f00, v0
	v_cmp_gt_u32_e64 s28, s29, v9
                                        ; implicit-def: $vgpr9_vgpr10
	s_and_saveexec_b32 s30, s28
	s_cbranch_execz .LBB7_263
; %bb.262:
	v_add_co_u32 v1, vcc_lo, 0x3f800, v1
	v_add_co_ci_u32_e32 v2, vcc_lo, 0, v2, vcc_lo
	global_load_dwordx2 v[9:10], v[1:2], off
.LBB7_263:
	s_or_b32 exec_lo, exec_lo, s30
	s_clause 0x1
	buffer_load_dword v1, off, s[100:103], 0
	buffer_load_dword v2, off, s[100:103], 0 offset:4
	v_readlane_b32 s30, v254, 8
	s_waitcnt vmcnt(0)
	v_add_f64 v[1:2], v[3:4], v[1:2]
	v_cndmask_b32_e64 v2, v4, v2, s30
	v_cndmask_b32_e64 v1, v3, v1, s30
	s_clause 0x1
	buffer_load_dword v3, off, s[100:103], 0 offset:8
	buffer_load_dword v4, off, s[100:103], 0 offset:12
	v_readlane_b32 s30, v254, 9
	s_waitcnt vmcnt(0)
	v_add_f64 v[3:4], v[1:2], v[3:4]
	v_cndmask_b32_e64 v2, v2, v4, s30
	v_cndmask_b32_e64 v1, v1, v3, s30
	s_clause 0x1
	buffer_load_dword v3, off, s[100:103], 0 offset:16
	buffer_load_dword v4, off, s[100:103], 0 offset:20
	v_readlane_b32 s30, v254, 10
	s_waitcnt vmcnt(0)
	v_add_f64 v[3:4], v[1:2], v[3:4]
	v_cndmask_b32_e64 v2, v2, v4, s30
	v_cndmask_b32_e64 v1, v1, v3, s30
	v_readlane_b32 s30, v254, 11
	v_add_f64 v[3:4], v[1:2], v[11:12]
	v_cndmask_b32_e64 v2, v2, v4, s30
	v_cndmask_b32_e64 v1, v1, v3, s30
	v_readlane_b32 s30, v254, 12
	;; [unrolled: 4-line block ×27, first 2 shown]
	v_add_f64 v[3:4], v[1:2], v[63:64]
	v_cndmask_b32_e64 v2, v2, v4, s30
	v_cndmask_b32_e64 v1, v1, v3, s30
	v_add_f64 v[3:4], v[1:2], v[65:66]
	v_cndmask_b32_e64 v2, v2, v4, s31
	v_cndmask_b32_e64 v1, v1, v3, s31
	;; [unrolled: 3-line block ×70, first 2 shown]
	v_add_f64 v[3:4], v[1:2], v[203:204]
	v_cndmask_b32_e64 v2, v2, v4, vcc_hi
	v_cndmask_b32_e64 v1, v1, v3, vcc_hi
	v_add_f64 v[3:4], v[1:2], v[205:206]
	v_cndmask_b32_e64 v2, v2, v4, s0
	v_cndmask_b32_e64 v1, v1, v3, s0
	s_min_u32 s0, s29, 0x100
	v_add_f64 v[3:4], v[1:2], v[207:208]
	v_cndmask_b32_e64 v2, v2, v4, s1
	v_cndmask_b32_e64 v1, v1, v3, s1
	s_mov_b32 s1, exec_lo
	v_add_f64 v[3:4], v[1:2], v[209:210]
	v_cndmask_b32_e64 v2, v2, v4, s2
	v_cndmask_b32_e64 v1, v1, v3, s2
	v_add_f64 v[3:4], v[1:2], v[211:212]
	v_cndmask_b32_e64 v2, v2, v4, s3
	v_cndmask_b32_e64 v1, v1, v3, s3
	;; [unrolled: 3-line block ×22, first 2 shown]
	v_add_f64 v[3:4], v[1:2], v[5:6]
	v_mbcnt_lo_u32_b32 v5, -1, 0
	v_cmp_ne_u32_e32 vcc_lo, 31, v5
	v_add_co_ci_u32_e32 v6, vcc_lo, 0, v5, vcc_lo
	v_lshlrev_b32_e32 v6, 2, v6
	v_cndmask_b32_e64 v2, v2, v4, s26
	v_cndmask_b32_e64 v1, v1, v3, s26
	v_add_f64 v[3:4], v[1:2], v[7:8]
	v_add_nc_u32_e32 v7, 1, v5
	v_cndmask_b32_e64 v2, v2, v4, s27
	v_cndmask_b32_e64 v1, v1, v3, s27
	v_add_f64 v[3:4], v[1:2], v[9:10]
	v_cndmask_b32_e64 v3, v1, v3, s28
	v_cndmask_b32_e64 v4, v2, v4, s28
	ds_bpermute_b32 v1, v6, v3
	ds_bpermute_b32 v2, v6, v4
	v_and_b32_e32 v6, 0xe0, v0
	v_sub_nc_u32_e64 v6, s0, v6 clamp
	v_cmpx_lt_u32_e64 v7, v6
	s_cbranch_execz .LBB7_265
; %bb.264:
	s_waitcnt lgkmcnt(0)
	v_add_f64 v[3:4], v[3:4], v[1:2]
.LBB7_265:
	s_or_b32 exec_lo, exec_lo, s1
	v_cmp_gt_u32_e32 vcc_lo, 30, v5
	v_add_nc_u32_e32 v7, 2, v5
	s_mov_b32 s1, exec_lo
	s_waitcnt lgkmcnt(1)
	v_cndmask_b32_e64 v1, 0, 1, vcc_lo
	v_lshlrev_b32_e32 v1, 1, v1
	s_waitcnt lgkmcnt(0)
	v_add_lshl_u32 v2, v1, v5, 2
	ds_bpermute_b32 v1, v2, v3
	ds_bpermute_b32 v2, v2, v4
	v_cmpx_lt_u32_e64 v7, v6
	s_cbranch_execz .LBB7_267
; %bb.266:
	s_waitcnt lgkmcnt(0)
	v_add_f64 v[3:4], v[3:4], v[1:2]
.LBB7_267:
	s_or_b32 exec_lo, exec_lo, s1
	v_cmp_gt_u32_e32 vcc_lo, 28, v5
	v_add_nc_u32_e32 v7, 4, v5
	s_mov_b32 s1, exec_lo
	s_waitcnt lgkmcnt(1)
	v_cndmask_b32_e64 v1, 0, 1, vcc_lo
	v_lshlrev_b32_e32 v1, 2, v1
	s_waitcnt lgkmcnt(0)
	v_add_lshl_u32 v2, v1, v5, 2
	ds_bpermute_b32 v1, v2, v3
	ds_bpermute_b32 v2, v2, v4
	;; [unrolled: 17-line block ×4, first 2 shown]
	v_cmpx_lt_u32_e64 v7, v6
	s_cbranch_execz .LBB7_273
; %bb.272:
	s_waitcnt lgkmcnt(0)
	v_add_f64 v[3:4], v[3:4], v[1:2]
.LBB7_273:
	s_or_b32 exec_lo, exec_lo, s1
	s_mov_b32 s1, exec_lo
	v_cmpx_eq_u32_e32 0, v5
	s_cbranch_execz .LBB7_275
; %bb.274:
	s_waitcnt lgkmcnt(1)
	v_lshrrev_b32_e32 v1, 2, v0
	v_and_b32_e32 v1, 56, v1
	ds_write_b64 v1, v[3:4] offset:64
.LBB7_275:
	s_or_b32 exec_lo, exec_lo, s1
	s_mov_b32 s1, exec_lo
	s_waitcnt lgkmcnt(0)
	s_waitcnt_vscnt null, 0x0
	s_barrier
	buffer_gl0_inv
	v_cmpx_gt_u32_e32 8, v0
	s_cbranch_execz .LBB7_283
; %bb.276:
	v_lshlrev_b32_e32 v1, 3, v5
	v_and_b32_e32 v6, 7, v5
	s_add_i32 s0, s0, 31
	s_mov_b32 s2, exec_lo
	s_lshr_b32 s0, s0, 5
	ds_read_b64 v[3:4], v1 offset:64
	v_cmp_ne_u32_e32 vcc_lo, 7, v6
	v_add_nc_u32_e32 v7, 1, v6
	v_add_co_ci_u32_e32 v1, vcc_lo, 0, v5, vcc_lo
	v_lshlrev_b32_e32 v2, 2, v1
	s_waitcnt lgkmcnt(0)
	ds_bpermute_b32 v1, v2, v3
	ds_bpermute_b32 v2, v2, v4
	v_cmpx_gt_u32_e64 s0, v7
	s_cbranch_execz .LBB7_278
; %bb.277:
	s_waitcnt lgkmcnt(0)
	v_add_f64 v[3:4], v[3:4], v[1:2]
.LBB7_278:
	s_or_b32 exec_lo, exec_lo, s2
	v_cmp_gt_u32_e32 vcc_lo, 6, v6
	v_add_nc_u32_e32 v7, 2, v6
	s_mov_b32 s2, exec_lo
	s_waitcnt lgkmcnt(1)
	v_cndmask_b32_e64 v1, 0, 1, vcc_lo
	v_lshlrev_b32_e32 v1, 1, v1
	s_waitcnt lgkmcnt(0)
	v_add_lshl_u32 v2, v1, v5, 2
	ds_bpermute_b32 v1, v2, v3
	ds_bpermute_b32 v2, v2, v4
	v_cmpx_gt_u32_e64 s0, v7
	s_cbranch_execz .LBB7_280
; %bb.279:
	s_waitcnt lgkmcnt(0)
	v_add_f64 v[3:4], v[3:4], v[1:2]
.LBB7_280:
	s_or_b32 exec_lo, exec_lo, s2
	v_cmp_gt_u32_e32 vcc_lo, 4, v6
	s_waitcnt lgkmcnt(1)
	v_cndmask_b32_e64 v1, 0, 1, vcc_lo
	v_lshlrev_b32_e32 v1, 2, v1
	s_waitcnt lgkmcnt(0)
	v_add_lshl_u32 v2, v1, v5, 2
	v_add_nc_u32_e32 v5, 4, v6
	ds_bpermute_b32 v1, v2, v3
	ds_bpermute_b32 v2, v2, v4
	v_cmp_gt_u32_e32 vcc_lo, s0, v5
	s_and_saveexec_b32 s0, vcc_lo
	s_cbranch_execz .LBB7_282
; %bb.281:
	s_waitcnt lgkmcnt(0)
	v_add_f64 v[3:4], v[3:4], v[1:2]
.LBB7_282:
	s_or_b32 exec_lo, exec_lo, s0
.LBB7_283:
	s_or_b32 exec_lo, exec_lo, s1
.LBB7_284:
	s_mov_b32 s0, exec_lo
	v_cmpx_eq_u32_e32 0, v0
	s_cbranch_execz .LBB7_286
; %bb.285:
	v_readlane_b32 s8, v254, 0
	v_readlane_b32 s14, v254, 6
	;; [unrolled: 1-line block ×7, first 2 shown]
	s_waitcnt lgkmcnt(1)
	v_add_f64 v[0:1], v[3:4], s[14:15]
	s_lshl_b64 s[0:1], s[6:7], 3
	s_waitcnt lgkmcnt(0)
	v_mov_b32_e32 v2, 0
	s_add_u32 s0, s12, s0
	s_addc_u32 s1, s13, s1
	s_cmp_eq_u64 s[10:11], 0
	v_readlane_b32 s9, v254, 1
	s_cselect_b32 s2, -1, 0
	v_cndmask_b32_e64 v1, v1, s15, s2
	v_cndmask_b32_e64 v0, v0, s14, s2
	global_store_dwordx2 v2, v[0:1], s[0:1]
.LBB7_286:
	s_endpgm
	.section	.rodata,"a",@progbits
	.p2align	6, 0x0
	.amdhsa_kernel _ZN7rocprim6detail19block_reduce_kernelILb1ELb1ELj16ENS0_21wrapped_reduce_configINS_14default_configEdEEdPdS5_dN6thrust4plusIdEEEEvT4_mT5_T6_T7_
		.amdhsa_group_segment_fixed_size 128
		.amdhsa_private_segment_fixed_size 28
		.amdhsa_kernarg_size 36
		.amdhsa_user_sgpr_count 6
		.amdhsa_user_sgpr_private_segment_buffer 1
		.amdhsa_user_sgpr_dispatch_ptr 0
		.amdhsa_user_sgpr_queue_ptr 0
		.amdhsa_user_sgpr_kernarg_segment_ptr 1
		.amdhsa_user_sgpr_dispatch_id 0
		.amdhsa_user_sgpr_flat_scratch_init 0
		.amdhsa_user_sgpr_private_segment_size 0
		.amdhsa_wavefront_size32 1
		.amdhsa_uses_dynamic_stack 0
		.amdhsa_system_sgpr_private_segment_wavefront_offset 1
		.amdhsa_system_sgpr_workgroup_id_x 1
		.amdhsa_system_sgpr_workgroup_id_y 0
		.amdhsa_system_sgpr_workgroup_id_z 0
		.amdhsa_system_sgpr_workgroup_info 0
		.amdhsa_system_vgpr_workitem_id 0
		.amdhsa_next_free_vgpr 255
		.amdhsa_next_free_sgpr 105
		.amdhsa_reserve_vcc 1
		.amdhsa_reserve_flat_scratch 0
		.amdhsa_float_round_mode_32 0
		.amdhsa_float_round_mode_16_64 0
		.amdhsa_float_denorm_mode_32 3
		.amdhsa_float_denorm_mode_16_64 3
		.amdhsa_dx10_clamp 1
		.amdhsa_ieee_mode 1
		.amdhsa_fp16_overflow 0
		.amdhsa_workgroup_processor_mode 1
		.amdhsa_memory_ordered 1
		.amdhsa_forward_progress 0
		.amdhsa_shared_vgpr_count 0
		.amdhsa_exception_fp_ieee_invalid_op 0
		.amdhsa_exception_fp_denorm_src 0
		.amdhsa_exception_fp_ieee_div_zero 0
		.amdhsa_exception_fp_ieee_overflow 0
		.amdhsa_exception_fp_ieee_underflow 0
		.amdhsa_exception_fp_ieee_inexact 0
		.amdhsa_exception_int_div_zero 0
	.end_amdhsa_kernel
	.section	.text._ZN7rocprim6detail19block_reduce_kernelILb1ELb1ELj16ENS0_21wrapped_reduce_configINS_14default_configEdEEdPdS5_dN6thrust4plusIdEEEEvT4_mT5_T6_T7_,"axG",@progbits,_ZN7rocprim6detail19block_reduce_kernelILb1ELb1ELj16ENS0_21wrapped_reduce_configINS_14default_configEdEEdPdS5_dN6thrust4plusIdEEEEvT4_mT5_T6_T7_,comdat
.Lfunc_end7:
	.size	_ZN7rocprim6detail19block_reduce_kernelILb1ELb1ELj16ENS0_21wrapped_reduce_configINS_14default_configEdEEdPdS5_dN6thrust4plusIdEEEEvT4_mT5_T6_T7_, .Lfunc_end7-_ZN7rocprim6detail19block_reduce_kernelILb1ELb1ELj16ENS0_21wrapped_reduce_configINS_14default_configEdEEdPdS5_dN6thrust4plusIdEEEEvT4_mT5_T6_T7_
                                        ; -- End function
	.section	.AMDGPU.csdata,"",@progbits
; Kernel info:
; codeLenInByte = 15176
; NumSgprs: 107
; NumVgprs: 255
; ScratchSize: 28
; MemoryBound: 1
; FloatMode: 240
; IeeeMode: 1
; LDSByteSize: 128 bytes/workgroup (compile time only)
; SGPRBlocks: 13
; VGPRBlocks: 31
; NumSGPRsForWavesPerEU: 107
; NumVGPRsForWavesPerEU: 255
; Occupancy: 4
; WaveLimiterHint : 1
; COMPUTE_PGM_RSRC2:SCRATCH_EN: 1
; COMPUTE_PGM_RSRC2:USER_SGPR: 6
; COMPUTE_PGM_RSRC2:TRAP_HANDLER: 0
; COMPUTE_PGM_RSRC2:TGID_X_EN: 1
; COMPUTE_PGM_RSRC2:TGID_Y_EN: 0
; COMPUTE_PGM_RSRC2:TGID_Z_EN: 0
; COMPUTE_PGM_RSRC2:TIDIG_COMP_CNT: 0
	.section	.text._ZN7rocprim6detail19block_reduce_kernelILb1ELb0ELj16ENS0_21wrapped_reduce_configINS_14default_configEdEEdPdS5_dN6thrust4plusIdEEEEvT4_mT5_T6_T7_,"axG",@progbits,_ZN7rocprim6detail19block_reduce_kernelILb1ELb0ELj16ENS0_21wrapped_reduce_configINS_14default_configEdEEdPdS5_dN6thrust4plusIdEEEEvT4_mT5_T6_T7_,comdat
	.protected	_ZN7rocprim6detail19block_reduce_kernelILb1ELb0ELj16ENS0_21wrapped_reduce_configINS_14default_configEdEEdPdS5_dN6thrust4plusIdEEEEvT4_mT5_T6_T7_ ; -- Begin function _ZN7rocprim6detail19block_reduce_kernelILb1ELb0ELj16ENS0_21wrapped_reduce_configINS_14default_configEdEEdPdS5_dN6thrust4plusIdEEEEvT4_mT5_T6_T7_
	.globl	_ZN7rocprim6detail19block_reduce_kernelILb1ELb0ELj16ENS0_21wrapped_reduce_configINS_14default_configEdEEdPdS5_dN6thrust4plusIdEEEEvT4_mT5_T6_T7_
	.p2align	8
	.type	_ZN7rocprim6detail19block_reduce_kernelILb1ELb0ELj16ENS0_21wrapped_reduce_configINS_14default_configEdEEdPdS5_dN6thrust4plusIdEEEEvT4_mT5_T6_T7_,@function
_ZN7rocprim6detail19block_reduce_kernelILb1ELb0ELj16ENS0_21wrapped_reduce_configINS_14default_configEdEEdPdS5_dN6thrust4plusIdEEEEvT4_mT5_T6_T7_: ; @_ZN7rocprim6detail19block_reduce_kernelILb1ELb0ELj16ENS0_21wrapped_reduce_configINS_14default_configEdEEdPdS5_dN6thrust4plusIdEEEEvT4_mT5_T6_T7_
; %bb.0:
	s_load_dwordx8 s[8:15], s[4:5], 0x0
	s_mov_b32 s1, 0
	v_mbcnt_lo_u32_b32 v5, -1, 0
	s_mov_b32 s7, s1
	s_lshl_b32 s0, s6, 8
	s_waitcnt lgkmcnt(0)
	s_lshr_b64 s[2:3], s[10:11], 8
	s_cmp_lg_u64 s[2:3], s[6:7]
	s_cbranch_scc0 .LBB8_6
; %bb.1:
	s_lshl_b64 s[2:3], s[0:1], 3
	v_lshlrev_b32_e32 v1, 3, v0
	s_add_u32 s2, s8, s2
	s_addc_u32 s3, s9, s3
	global_load_dwordx2 v[1:2], v1, s[2:3]
	s_mov_b32 s2, exec_lo
	s_waitcnt vmcnt(0)
	v_mov_b32_dpp v3, v1 quad_perm:[1,0,3,2] row_mask:0xf bank_mask:0xf
	v_mov_b32_dpp v4, v2 quad_perm:[1,0,3,2] row_mask:0xf bank_mask:0xf
	v_add_f64 v[1:2], v[1:2], v[3:4]
	v_mov_b32_dpp v3, v1 quad_perm:[2,3,0,1] row_mask:0xf bank_mask:0xf
	v_mov_b32_dpp v4, v2 quad_perm:[2,3,0,1] row_mask:0xf bank_mask:0xf
	v_add_f64 v[1:2], v[1:2], v[3:4]
	v_mov_b32_dpp v3, v1 row_ror:4 row_mask:0xf bank_mask:0xf
	v_mov_b32_dpp v4, v2 row_ror:4 row_mask:0xf bank_mask:0xf
	v_add_f64 v[1:2], v[1:2], v[3:4]
	v_mov_b32_dpp v3, v1 row_ror:8 row_mask:0xf bank_mask:0xf
	v_mov_b32_dpp v4, v2 row_ror:8 row_mask:0xf bank_mask:0xf
	v_add_f64 v[1:2], v[1:2], v[3:4]
	ds_swizzle_b32 v3, v1 offset:swizzle(BROADCAST,32,15)
	ds_swizzle_b32 v4, v2 offset:swizzle(BROADCAST,32,15)
	s_waitcnt lgkmcnt(0)
	v_add_f64 v[1:2], v[1:2], v[3:4]
	v_mov_b32_e32 v3, 0
	ds_bpermute_b32 v1, v3, v1 offset:124
	ds_bpermute_b32 v2, v3, v2 offset:124
	v_cmpx_eq_u32_e32 0, v5
	s_cbranch_execz .LBB8_3
; %bb.2:
	v_lshrrev_b32_e32 v3, 2, v0
	v_and_b32_e32 v3, 56, v3
	s_waitcnt lgkmcnt(0)
	ds_write_b64 v3, v[1:2]
.LBB8_3:
	s_or_b32 exec_lo, exec_lo, s2
	s_mov_b32 s2, exec_lo
	s_waitcnt lgkmcnt(0)
	s_barrier
	buffer_gl0_inv
	v_cmpx_gt_u32_e32 32, v0
	s_cbranch_execz .LBB8_5
; %bb.4:
	v_and_b32_e32 v6, 7, v5
	v_lshlrev_b32_e32 v1, 3, v6
	v_cmp_ne_u32_e32 vcc_lo, 7, v6
	ds_read_b64 v[1:2], v1
	v_add_co_ci_u32_e32 v3, vcc_lo, 0, v5, vcc_lo
	v_cmp_gt_u32_e32 vcc_lo, 6, v6
	v_lshlrev_b32_e32 v4, 2, v3
	s_waitcnt lgkmcnt(0)
	ds_bpermute_b32 v3, v4, v1
	ds_bpermute_b32 v4, v4, v2
	s_waitcnt lgkmcnt(0)
	v_add_f64 v[1:2], v[1:2], v[3:4]
	v_cndmask_b32_e64 v3, 0, 1, vcc_lo
	v_cmp_gt_u32_e32 vcc_lo, 4, v6
	v_lshlrev_b32_e32 v3, 1, v3
	v_add_lshl_u32 v4, v3, v5, 2
	ds_bpermute_b32 v3, v4, v1
	ds_bpermute_b32 v4, v4, v2
	s_waitcnt lgkmcnt(0)
	v_add_f64 v[1:2], v[1:2], v[3:4]
	v_cndmask_b32_e64 v3, 0, 1, vcc_lo
	v_lshlrev_b32_e32 v3, 2, v3
	v_add_lshl_u32 v4, v3, v5, 2
	ds_bpermute_b32 v3, v4, v1
	ds_bpermute_b32 v4, v4, v2
	s_waitcnt lgkmcnt(0)
	v_add_f64 v[1:2], v[1:2], v[3:4]
.LBB8_5:
	s_or_b32 exec_lo, exec_lo, s2
	s_branch .LBB8_30
.LBB8_6:
                                        ; implicit-def: $vgpr1_vgpr2
	s_cbranch_execz .LBB8_30
; %bb.7:
	s_sub_i32 s2, s10, s0
	s_mov_b32 s3, exec_lo
                                        ; implicit-def: $vgpr1_vgpr2
	v_cmpx_gt_u32_e64 s2, v0
	s_cbranch_execz .LBB8_9
; %bb.8:
	s_lshl_b64 s[0:1], s[0:1], 3
	v_lshlrev_b32_e32 v1, 3, v0
	s_add_u32 s0, s8, s0
	s_addc_u32 s1, s9, s1
	global_load_dwordx2 v[1:2], v1, s[0:1]
.LBB8_9:
	s_or_b32 exec_lo, exec_lo, s3
	v_cmp_ne_u32_e32 vcc_lo, 31, v5
	v_and_b32_e32 v6, 0xe0, v0
	s_min_u32 s0, s2, 0x100
	v_add_nc_u32_e32 v7, 1, v5
	s_mov_b32 s1, exec_lo
	v_add_co_ci_u32_e32 v3, vcc_lo, 0, v5, vcc_lo
	v_sub_nc_u32_e64 v6, s0, v6 clamp
	v_lshlrev_b32_e32 v4, 2, v3
	s_waitcnt vmcnt(0)
	ds_bpermute_b32 v3, v4, v1
	ds_bpermute_b32 v4, v4, v2
	v_cmpx_lt_u32_e64 v7, v6
	s_cbranch_execz .LBB8_11
; %bb.10:
	s_waitcnt lgkmcnt(0)
	v_add_f64 v[1:2], v[1:2], v[3:4]
.LBB8_11:
	s_or_b32 exec_lo, exec_lo, s1
	v_cmp_gt_u32_e32 vcc_lo, 30, v5
	v_add_nc_u32_e32 v7, 2, v5
	s_mov_b32 s1, exec_lo
	s_waitcnt lgkmcnt(1)
	v_cndmask_b32_e64 v3, 0, 1, vcc_lo
	v_lshlrev_b32_e32 v3, 1, v3
	s_waitcnt lgkmcnt(0)
	v_add_lshl_u32 v4, v3, v5, 2
	ds_bpermute_b32 v3, v4, v1
	ds_bpermute_b32 v4, v4, v2
	v_cmpx_lt_u32_e64 v7, v6
	s_cbranch_execz .LBB8_13
; %bb.12:
	s_waitcnt lgkmcnt(0)
	v_add_f64 v[1:2], v[1:2], v[3:4]
.LBB8_13:
	s_or_b32 exec_lo, exec_lo, s1
	v_cmp_gt_u32_e32 vcc_lo, 28, v5
	v_add_nc_u32_e32 v7, 4, v5
	s_mov_b32 s1, exec_lo
	s_waitcnt lgkmcnt(1)
	v_cndmask_b32_e64 v3, 0, 1, vcc_lo
	v_lshlrev_b32_e32 v3, 2, v3
	s_waitcnt lgkmcnt(0)
	v_add_lshl_u32 v4, v3, v5, 2
	;; [unrolled: 17-line block ×4, first 2 shown]
	ds_bpermute_b32 v3, v4, v1
	ds_bpermute_b32 v4, v4, v2
	v_cmpx_lt_u32_e64 v7, v6
	s_cbranch_execz .LBB8_19
; %bb.18:
	s_waitcnt lgkmcnt(0)
	v_add_f64 v[1:2], v[1:2], v[3:4]
.LBB8_19:
	s_or_b32 exec_lo, exec_lo, s1
	s_mov_b32 s1, exec_lo
	v_cmpx_eq_u32_e32 0, v5
	s_cbranch_execz .LBB8_21
; %bb.20:
	s_waitcnt lgkmcnt(1)
	v_lshrrev_b32_e32 v3, 2, v0
	v_and_b32_e32 v3, 56, v3
	ds_write_b64 v3, v[1:2] offset:64
.LBB8_21:
	s_or_b32 exec_lo, exec_lo, s1
	s_mov_b32 s1, exec_lo
	s_waitcnt lgkmcnt(0)
	s_barrier
	buffer_gl0_inv
	v_cmpx_gt_u32_e32 8, v0
	s_cbranch_execz .LBB8_29
; %bb.22:
	v_lshlrev_b32_e32 v1, 3, v5
	v_and_b32_e32 v6, 7, v5
	s_add_i32 s0, s0, 31
	s_mov_b32 s2, exec_lo
	s_lshr_b32 s0, s0, 5
	ds_read_b64 v[1:2], v1 offset:64
	v_cmp_ne_u32_e32 vcc_lo, 7, v6
	v_add_nc_u32_e32 v7, 1, v6
	v_add_co_ci_u32_e32 v3, vcc_lo, 0, v5, vcc_lo
	v_lshlrev_b32_e32 v4, 2, v3
	s_waitcnt lgkmcnt(0)
	ds_bpermute_b32 v3, v4, v1
	ds_bpermute_b32 v4, v4, v2
	v_cmpx_gt_u32_e64 s0, v7
	s_cbranch_execz .LBB8_24
; %bb.23:
	s_waitcnt lgkmcnt(0)
	v_add_f64 v[1:2], v[1:2], v[3:4]
.LBB8_24:
	s_or_b32 exec_lo, exec_lo, s2
	v_cmp_gt_u32_e32 vcc_lo, 6, v6
	v_add_nc_u32_e32 v7, 2, v6
	s_mov_b32 s2, exec_lo
	s_waitcnt lgkmcnt(1)
	v_cndmask_b32_e64 v3, 0, 1, vcc_lo
	v_lshlrev_b32_e32 v3, 1, v3
	s_waitcnt lgkmcnt(0)
	v_add_lshl_u32 v4, v3, v5, 2
	ds_bpermute_b32 v3, v4, v1
	ds_bpermute_b32 v4, v4, v2
	v_cmpx_gt_u32_e64 s0, v7
	s_cbranch_execz .LBB8_26
; %bb.25:
	s_waitcnt lgkmcnt(0)
	v_add_f64 v[1:2], v[1:2], v[3:4]
.LBB8_26:
	s_or_b32 exec_lo, exec_lo, s2
	v_cmp_gt_u32_e32 vcc_lo, 4, v6
	s_waitcnt lgkmcnt(1)
	v_cndmask_b32_e64 v3, 0, 1, vcc_lo
	v_lshlrev_b32_e32 v3, 2, v3
	s_waitcnt lgkmcnt(0)
	v_add_lshl_u32 v4, v3, v5, 2
	v_add_nc_u32_e32 v5, 4, v6
	ds_bpermute_b32 v3, v4, v1
	ds_bpermute_b32 v4, v4, v2
	v_cmp_gt_u32_e32 vcc_lo, s0, v5
	s_and_saveexec_b32 s0, vcc_lo
	s_cbranch_execz .LBB8_28
; %bb.27:
	s_waitcnt lgkmcnt(0)
	v_add_f64 v[1:2], v[1:2], v[3:4]
.LBB8_28:
	s_or_b32 exec_lo, exec_lo, s0
.LBB8_29:
	s_or_b32 exec_lo, exec_lo, s1
.LBB8_30:
	s_mov_b32 s0, exec_lo
	v_cmpx_eq_u32_e32 0, v0
	s_cbranch_execz .LBB8_32
; %bb.31:
	v_add_f64 v[0:1], v[1:2], s[14:15]
	s_lshl_b64 s[0:1], s[6:7], 3
	v_mov_b32_e32 v2, 0
	s_add_u32 s0, s12, s0
	s_addc_u32 s1, s13, s1
	s_cmp_eq_u64 s[10:11], 0
	s_cselect_b32 s2, -1, 0
	v_cndmask_b32_e64 v1, v1, s15, s2
	v_cndmask_b32_e64 v0, v0, s14, s2
	global_store_dwordx2 v2, v[0:1], s[0:1]
.LBB8_32:
	s_endpgm
	.section	.rodata,"a",@progbits
	.p2align	6, 0x0
	.amdhsa_kernel _ZN7rocprim6detail19block_reduce_kernelILb1ELb0ELj16ENS0_21wrapped_reduce_configINS_14default_configEdEEdPdS5_dN6thrust4plusIdEEEEvT4_mT5_T6_T7_
		.amdhsa_group_segment_fixed_size 128
		.amdhsa_private_segment_fixed_size 0
		.amdhsa_kernarg_size 36
		.amdhsa_user_sgpr_count 6
		.amdhsa_user_sgpr_private_segment_buffer 1
		.amdhsa_user_sgpr_dispatch_ptr 0
		.amdhsa_user_sgpr_queue_ptr 0
		.amdhsa_user_sgpr_kernarg_segment_ptr 1
		.amdhsa_user_sgpr_dispatch_id 0
		.amdhsa_user_sgpr_flat_scratch_init 0
		.amdhsa_user_sgpr_private_segment_size 0
		.amdhsa_wavefront_size32 1
		.amdhsa_uses_dynamic_stack 0
		.amdhsa_system_sgpr_private_segment_wavefront_offset 0
		.amdhsa_system_sgpr_workgroup_id_x 1
		.amdhsa_system_sgpr_workgroup_id_y 0
		.amdhsa_system_sgpr_workgroup_id_z 0
		.amdhsa_system_sgpr_workgroup_info 0
		.amdhsa_system_vgpr_workitem_id 0
		.amdhsa_next_free_vgpr 8
		.amdhsa_next_free_sgpr 16
		.amdhsa_reserve_vcc 1
		.amdhsa_reserve_flat_scratch 0
		.amdhsa_float_round_mode_32 0
		.amdhsa_float_round_mode_16_64 0
		.amdhsa_float_denorm_mode_32 3
		.amdhsa_float_denorm_mode_16_64 3
		.amdhsa_dx10_clamp 1
		.amdhsa_ieee_mode 1
		.amdhsa_fp16_overflow 0
		.amdhsa_workgroup_processor_mode 1
		.amdhsa_memory_ordered 1
		.amdhsa_forward_progress 0
		.amdhsa_shared_vgpr_count 0
		.amdhsa_exception_fp_ieee_invalid_op 0
		.amdhsa_exception_fp_denorm_src 0
		.amdhsa_exception_fp_ieee_div_zero 0
		.amdhsa_exception_fp_ieee_overflow 0
		.amdhsa_exception_fp_ieee_underflow 0
		.amdhsa_exception_fp_ieee_inexact 0
		.amdhsa_exception_int_div_zero 0
	.end_amdhsa_kernel
	.section	.text._ZN7rocprim6detail19block_reduce_kernelILb1ELb0ELj16ENS0_21wrapped_reduce_configINS_14default_configEdEEdPdS5_dN6thrust4plusIdEEEEvT4_mT5_T6_T7_,"axG",@progbits,_ZN7rocprim6detail19block_reduce_kernelILb1ELb0ELj16ENS0_21wrapped_reduce_configINS_14default_configEdEEdPdS5_dN6thrust4plusIdEEEEvT4_mT5_T6_T7_,comdat
.Lfunc_end8:
	.size	_ZN7rocprim6detail19block_reduce_kernelILb1ELb0ELj16ENS0_21wrapped_reduce_configINS_14default_configEdEEdPdS5_dN6thrust4plusIdEEEEvT4_mT5_T6_T7_, .Lfunc_end8-_ZN7rocprim6detail19block_reduce_kernelILb1ELb0ELj16ENS0_21wrapped_reduce_configINS_14default_configEdEEdPdS5_dN6thrust4plusIdEEEEvT4_mT5_T6_T7_
                                        ; -- End function
	.section	.AMDGPU.csdata,"",@progbits
; Kernel info:
; codeLenInByte = 1328
; NumSgprs: 18
; NumVgprs: 8
; ScratchSize: 0
; MemoryBound: 0
; FloatMode: 240
; IeeeMode: 1
; LDSByteSize: 128 bytes/workgroup (compile time only)
; SGPRBlocks: 2
; VGPRBlocks: 0
; NumSGPRsForWavesPerEU: 18
; NumVGPRsForWavesPerEU: 8
; Occupancy: 16
; WaveLimiterHint : 0
; COMPUTE_PGM_RSRC2:SCRATCH_EN: 0
; COMPUTE_PGM_RSRC2:USER_SGPR: 6
; COMPUTE_PGM_RSRC2:TRAP_HANDLER: 0
; COMPUTE_PGM_RSRC2:TGID_X_EN: 1
; COMPUTE_PGM_RSRC2:TGID_Y_EN: 0
; COMPUTE_PGM_RSRC2:TGID_Z_EN: 0
; COMPUTE_PGM_RSRC2:TIDIG_COMP_CNT: 0
	.section	.text._ZN7rocprim6detail19block_reduce_kernelILb1ELb0ELj8ENS0_21wrapped_reduce_configINS_14default_configEdEEdPdS5_dN6thrust4plusIdEEEEvT4_mT5_T6_T7_,"axG",@progbits,_ZN7rocprim6detail19block_reduce_kernelILb1ELb0ELj8ENS0_21wrapped_reduce_configINS_14default_configEdEEdPdS5_dN6thrust4plusIdEEEEvT4_mT5_T6_T7_,comdat
	.protected	_ZN7rocprim6detail19block_reduce_kernelILb1ELb0ELj8ENS0_21wrapped_reduce_configINS_14default_configEdEEdPdS5_dN6thrust4plusIdEEEEvT4_mT5_T6_T7_ ; -- Begin function _ZN7rocprim6detail19block_reduce_kernelILb1ELb0ELj8ENS0_21wrapped_reduce_configINS_14default_configEdEEdPdS5_dN6thrust4plusIdEEEEvT4_mT5_T6_T7_
	.globl	_ZN7rocprim6detail19block_reduce_kernelILb1ELb0ELj8ENS0_21wrapped_reduce_configINS_14default_configEdEEdPdS5_dN6thrust4plusIdEEEEvT4_mT5_T6_T7_
	.p2align	8
	.type	_ZN7rocprim6detail19block_reduce_kernelILb1ELb0ELj8ENS0_21wrapped_reduce_configINS_14default_configEdEEdPdS5_dN6thrust4plusIdEEEEvT4_mT5_T6_T7_,@function
_ZN7rocprim6detail19block_reduce_kernelILb1ELb0ELj8ENS0_21wrapped_reduce_configINS_14default_configEdEEdPdS5_dN6thrust4plusIdEEEEvT4_mT5_T6_T7_: ; @_ZN7rocprim6detail19block_reduce_kernelILb1ELb0ELj8ENS0_21wrapped_reduce_configINS_14default_configEdEEdPdS5_dN6thrust4plusIdEEEEvT4_mT5_T6_T7_
; %bb.0:
	s_load_dwordx8 s[8:15], s[4:5], 0x0
	s_mov_b32 s1, 0
	v_mbcnt_lo_u32_b32 v5, -1, 0
	s_mov_b32 s7, s1
	s_lshl_b32 s0, s6, 8
	s_waitcnt lgkmcnt(0)
	s_lshr_b64 s[2:3], s[10:11], 8
	s_cmp_lg_u64 s[2:3], s[6:7]
	s_cbranch_scc0 .LBB9_6
; %bb.1:
	s_lshl_b64 s[2:3], s[0:1], 3
	v_lshlrev_b32_e32 v1, 3, v0
	s_add_u32 s2, s8, s2
	s_addc_u32 s3, s9, s3
	global_load_dwordx2 v[1:2], v1, s[2:3]
	s_mov_b32 s2, exec_lo
	s_waitcnt vmcnt(0)
	v_mov_b32_dpp v3, v1 quad_perm:[1,0,3,2] row_mask:0xf bank_mask:0xf
	v_mov_b32_dpp v4, v2 quad_perm:[1,0,3,2] row_mask:0xf bank_mask:0xf
	v_add_f64 v[1:2], v[1:2], v[3:4]
	v_mov_b32_dpp v3, v1 quad_perm:[2,3,0,1] row_mask:0xf bank_mask:0xf
	v_mov_b32_dpp v4, v2 quad_perm:[2,3,0,1] row_mask:0xf bank_mask:0xf
	v_add_f64 v[1:2], v[1:2], v[3:4]
	v_mov_b32_dpp v3, v1 row_ror:4 row_mask:0xf bank_mask:0xf
	v_mov_b32_dpp v4, v2 row_ror:4 row_mask:0xf bank_mask:0xf
	v_add_f64 v[1:2], v[1:2], v[3:4]
	v_mov_b32_dpp v3, v1 row_ror:8 row_mask:0xf bank_mask:0xf
	v_mov_b32_dpp v4, v2 row_ror:8 row_mask:0xf bank_mask:0xf
	v_add_f64 v[1:2], v[1:2], v[3:4]
	ds_swizzle_b32 v3, v1 offset:swizzle(BROADCAST,32,15)
	ds_swizzle_b32 v4, v2 offset:swizzle(BROADCAST,32,15)
	s_waitcnt lgkmcnt(0)
	v_add_f64 v[1:2], v[1:2], v[3:4]
	v_mov_b32_e32 v3, 0
	ds_bpermute_b32 v1, v3, v1 offset:124
	ds_bpermute_b32 v2, v3, v2 offset:124
	v_cmpx_eq_u32_e32 0, v5
	s_cbranch_execz .LBB9_3
; %bb.2:
	v_lshrrev_b32_e32 v3, 2, v0
	v_and_b32_e32 v3, 56, v3
	s_waitcnt lgkmcnt(0)
	ds_write_b64 v3, v[1:2]
.LBB9_3:
	s_or_b32 exec_lo, exec_lo, s2
	s_mov_b32 s2, exec_lo
	s_waitcnt lgkmcnt(0)
	s_barrier
	buffer_gl0_inv
	v_cmpx_gt_u32_e32 32, v0
	s_cbranch_execz .LBB9_5
; %bb.4:
	v_and_b32_e32 v6, 7, v5
	v_lshlrev_b32_e32 v1, 3, v6
	v_cmp_ne_u32_e32 vcc_lo, 7, v6
	ds_read_b64 v[1:2], v1
	v_add_co_ci_u32_e32 v3, vcc_lo, 0, v5, vcc_lo
	v_cmp_gt_u32_e32 vcc_lo, 6, v6
	v_lshlrev_b32_e32 v4, 2, v3
	s_waitcnt lgkmcnt(0)
	ds_bpermute_b32 v3, v4, v1
	ds_bpermute_b32 v4, v4, v2
	s_waitcnt lgkmcnt(0)
	v_add_f64 v[1:2], v[1:2], v[3:4]
	v_cndmask_b32_e64 v3, 0, 1, vcc_lo
	v_cmp_gt_u32_e32 vcc_lo, 4, v6
	v_lshlrev_b32_e32 v3, 1, v3
	v_add_lshl_u32 v4, v3, v5, 2
	ds_bpermute_b32 v3, v4, v1
	ds_bpermute_b32 v4, v4, v2
	s_waitcnt lgkmcnt(0)
	v_add_f64 v[1:2], v[1:2], v[3:4]
	v_cndmask_b32_e64 v3, 0, 1, vcc_lo
	v_lshlrev_b32_e32 v3, 2, v3
	v_add_lshl_u32 v4, v3, v5, 2
	ds_bpermute_b32 v3, v4, v1
	ds_bpermute_b32 v4, v4, v2
	s_waitcnt lgkmcnt(0)
	v_add_f64 v[1:2], v[1:2], v[3:4]
.LBB9_5:
	s_or_b32 exec_lo, exec_lo, s2
	s_branch .LBB9_30
.LBB9_6:
                                        ; implicit-def: $vgpr1_vgpr2
	s_cbranch_execz .LBB9_30
; %bb.7:
	s_sub_i32 s2, s10, s0
	s_mov_b32 s3, exec_lo
                                        ; implicit-def: $vgpr1_vgpr2
	v_cmpx_gt_u32_e64 s2, v0
	s_cbranch_execz .LBB9_9
; %bb.8:
	s_lshl_b64 s[0:1], s[0:1], 3
	v_lshlrev_b32_e32 v1, 3, v0
	s_add_u32 s0, s8, s0
	s_addc_u32 s1, s9, s1
	global_load_dwordx2 v[1:2], v1, s[0:1]
.LBB9_9:
	s_or_b32 exec_lo, exec_lo, s3
	v_cmp_ne_u32_e32 vcc_lo, 31, v5
	v_and_b32_e32 v6, 0xe0, v0
	s_min_u32 s0, s2, 0x100
	v_add_nc_u32_e32 v7, 1, v5
	s_mov_b32 s1, exec_lo
	v_add_co_ci_u32_e32 v3, vcc_lo, 0, v5, vcc_lo
	v_sub_nc_u32_e64 v6, s0, v6 clamp
	v_lshlrev_b32_e32 v4, 2, v3
	s_waitcnt vmcnt(0)
	ds_bpermute_b32 v3, v4, v1
	ds_bpermute_b32 v4, v4, v2
	v_cmpx_lt_u32_e64 v7, v6
	s_cbranch_execz .LBB9_11
; %bb.10:
	s_waitcnt lgkmcnt(0)
	v_add_f64 v[1:2], v[1:2], v[3:4]
.LBB9_11:
	s_or_b32 exec_lo, exec_lo, s1
	v_cmp_gt_u32_e32 vcc_lo, 30, v5
	v_add_nc_u32_e32 v7, 2, v5
	s_mov_b32 s1, exec_lo
	s_waitcnt lgkmcnt(1)
	v_cndmask_b32_e64 v3, 0, 1, vcc_lo
	v_lshlrev_b32_e32 v3, 1, v3
	s_waitcnt lgkmcnt(0)
	v_add_lshl_u32 v4, v3, v5, 2
	ds_bpermute_b32 v3, v4, v1
	ds_bpermute_b32 v4, v4, v2
	v_cmpx_lt_u32_e64 v7, v6
	s_cbranch_execz .LBB9_13
; %bb.12:
	s_waitcnt lgkmcnt(0)
	v_add_f64 v[1:2], v[1:2], v[3:4]
.LBB9_13:
	s_or_b32 exec_lo, exec_lo, s1
	v_cmp_gt_u32_e32 vcc_lo, 28, v5
	v_add_nc_u32_e32 v7, 4, v5
	s_mov_b32 s1, exec_lo
	s_waitcnt lgkmcnt(1)
	v_cndmask_b32_e64 v3, 0, 1, vcc_lo
	v_lshlrev_b32_e32 v3, 2, v3
	s_waitcnt lgkmcnt(0)
	v_add_lshl_u32 v4, v3, v5, 2
	ds_bpermute_b32 v3, v4, v1
	ds_bpermute_b32 v4, v4, v2
	v_cmpx_lt_u32_e64 v7, v6
	s_cbranch_execz .LBB9_15
; %bb.14:
	s_waitcnt lgkmcnt(0)
	v_add_f64 v[1:2], v[1:2], v[3:4]
.LBB9_15:
	s_or_b32 exec_lo, exec_lo, s1
	v_cmp_gt_u32_e32 vcc_lo, 24, v5
	v_add_nc_u32_e32 v7, 8, v5
	s_mov_b32 s1, exec_lo
	s_waitcnt lgkmcnt(1)
	v_cndmask_b32_e64 v3, 0, 1, vcc_lo
	v_lshlrev_b32_e32 v3, 3, v3
	s_waitcnt lgkmcnt(0)
	v_add_lshl_u32 v4, v3, v5, 2
	ds_bpermute_b32 v3, v4, v1
	ds_bpermute_b32 v4, v4, v2
	v_cmpx_lt_u32_e64 v7, v6
	s_cbranch_execz .LBB9_17
; %bb.16:
	s_waitcnt lgkmcnt(0)
	v_add_f64 v[1:2], v[1:2], v[3:4]
.LBB9_17:
	s_or_b32 exec_lo, exec_lo, s1
	v_cmp_gt_u32_e32 vcc_lo, 16, v5
	v_add_nc_u32_e32 v7, 16, v5
	s_mov_b32 s1, exec_lo
	s_waitcnt lgkmcnt(1)
	v_cndmask_b32_e64 v3, 0, 1, vcc_lo
	v_lshlrev_b32_e32 v3, 4, v3
	s_waitcnt lgkmcnt(0)
	v_add_lshl_u32 v4, v3, v5, 2
	ds_bpermute_b32 v3, v4, v1
	ds_bpermute_b32 v4, v4, v2
	v_cmpx_lt_u32_e64 v7, v6
	s_cbranch_execz .LBB9_19
; %bb.18:
	s_waitcnt lgkmcnt(0)
	v_add_f64 v[1:2], v[1:2], v[3:4]
.LBB9_19:
	s_or_b32 exec_lo, exec_lo, s1
	s_mov_b32 s1, exec_lo
	v_cmpx_eq_u32_e32 0, v5
	s_cbranch_execz .LBB9_21
; %bb.20:
	s_waitcnt lgkmcnt(1)
	v_lshrrev_b32_e32 v3, 2, v0
	v_and_b32_e32 v3, 56, v3
	ds_write_b64 v3, v[1:2] offset:64
.LBB9_21:
	s_or_b32 exec_lo, exec_lo, s1
	s_mov_b32 s1, exec_lo
	s_waitcnt lgkmcnt(0)
	s_barrier
	buffer_gl0_inv
	v_cmpx_gt_u32_e32 8, v0
	s_cbranch_execz .LBB9_29
; %bb.22:
	v_lshlrev_b32_e32 v1, 3, v5
	v_and_b32_e32 v6, 7, v5
	s_add_i32 s0, s0, 31
	s_mov_b32 s2, exec_lo
	s_lshr_b32 s0, s0, 5
	ds_read_b64 v[1:2], v1 offset:64
	v_cmp_ne_u32_e32 vcc_lo, 7, v6
	v_add_nc_u32_e32 v7, 1, v6
	v_add_co_ci_u32_e32 v3, vcc_lo, 0, v5, vcc_lo
	v_lshlrev_b32_e32 v4, 2, v3
	s_waitcnt lgkmcnt(0)
	ds_bpermute_b32 v3, v4, v1
	ds_bpermute_b32 v4, v4, v2
	v_cmpx_gt_u32_e64 s0, v7
	s_cbranch_execz .LBB9_24
; %bb.23:
	s_waitcnt lgkmcnt(0)
	v_add_f64 v[1:2], v[1:2], v[3:4]
.LBB9_24:
	s_or_b32 exec_lo, exec_lo, s2
	v_cmp_gt_u32_e32 vcc_lo, 6, v6
	v_add_nc_u32_e32 v7, 2, v6
	s_mov_b32 s2, exec_lo
	s_waitcnt lgkmcnt(1)
	v_cndmask_b32_e64 v3, 0, 1, vcc_lo
	v_lshlrev_b32_e32 v3, 1, v3
	s_waitcnt lgkmcnt(0)
	v_add_lshl_u32 v4, v3, v5, 2
	ds_bpermute_b32 v3, v4, v1
	ds_bpermute_b32 v4, v4, v2
	v_cmpx_gt_u32_e64 s0, v7
	s_cbranch_execz .LBB9_26
; %bb.25:
	s_waitcnt lgkmcnt(0)
	v_add_f64 v[1:2], v[1:2], v[3:4]
.LBB9_26:
	s_or_b32 exec_lo, exec_lo, s2
	v_cmp_gt_u32_e32 vcc_lo, 4, v6
	s_waitcnt lgkmcnt(1)
	v_cndmask_b32_e64 v3, 0, 1, vcc_lo
	v_lshlrev_b32_e32 v3, 2, v3
	s_waitcnt lgkmcnt(0)
	v_add_lshl_u32 v4, v3, v5, 2
	v_add_nc_u32_e32 v5, 4, v6
	ds_bpermute_b32 v3, v4, v1
	ds_bpermute_b32 v4, v4, v2
	v_cmp_gt_u32_e32 vcc_lo, s0, v5
	s_and_saveexec_b32 s0, vcc_lo
	s_cbranch_execz .LBB9_28
; %bb.27:
	s_waitcnt lgkmcnt(0)
	v_add_f64 v[1:2], v[1:2], v[3:4]
.LBB9_28:
	s_or_b32 exec_lo, exec_lo, s0
.LBB9_29:
	s_or_b32 exec_lo, exec_lo, s1
.LBB9_30:
	s_mov_b32 s0, exec_lo
	v_cmpx_eq_u32_e32 0, v0
	s_cbranch_execz .LBB9_32
; %bb.31:
	v_add_f64 v[0:1], v[1:2], s[14:15]
	s_lshl_b64 s[0:1], s[6:7], 3
	v_mov_b32_e32 v2, 0
	s_add_u32 s0, s12, s0
	s_addc_u32 s1, s13, s1
	s_cmp_eq_u64 s[10:11], 0
	s_cselect_b32 s2, -1, 0
	v_cndmask_b32_e64 v1, v1, s15, s2
	v_cndmask_b32_e64 v0, v0, s14, s2
	global_store_dwordx2 v2, v[0:1], s[0:1]
.LBB9_32:
	s_endpgm
	.section	.rodata,"a",@progbits
	.p2align	6, 0x0
	.amdhsa_kernel _ZN7rocprim6detail19block_reduce_kernelILb1ELb0ELj8ENS0_21wrapped_reduce_configINS_14default_configEdEEdPdS5_dN6thrust4plusIdEEEEvT4_mT5_T6_T7_
		.amdhsa_group_segment_fixed_size 128
		.amdhsa_private_segment_fixed_size 0
		.amdhsa_kernarg_size 36
		.amdhsa_user_sgpr_count 6
		.amdhsa_user_sgpr_private_segment_buffer 1
		.amdhsa_user_sgpr_dispatch_ptr 0
		.amdhsa_user_sgpr_queue_ptr 0
		.amdhsa_user_sgpr_kernarg_segment_ptr 1
		.amdhsa_user_sgpr_dispatch_id 0
		.amdhsa_user_sgpr_flat_scratch_init 0
		.amdhsa_user_sgpr_private_segment_size 0
		.amdhsa_wavefront_size32 1
		.amdhsa_uses_dynamic_stack 0
		.amdhsa_system_sgpr_private_segment_wavefront_offset 0
		.amdhsa_system_sgpr_workgroup_id_x 1
		.amdhsa_system_sgpr_workgroup_id_y 0
		.amdhsa_system_sgpr_workgroup_id_z 0
		.amdhsa_system_sgpr_workgroup_info 0
		.amdhsa_system_vgpr_workitem_id 0
		.amdhsa_next_free_vgpr 8
		.amdhsa_next_free_sgpr 16
		.amdhsa_reserve_vcc 1
		.amdhsa_reserve_flat_scratch 0
		.amdhsa_float_round_mode_32 0
		.amdhsa_float_round_mode_16_64 0
		.amdhsa_float_denorm_mode_32 3
		.amdhsa_float_denorm_mode_16_64 3
		.amdhsa_dx10_clamp 1
		.amdhsa_ieee_mode 1
		.amdhsa_fp16_overflow 0
		.amdhsa_workgroup_processor_mode 1
		.amdhsa_memory_ordered 1
		.amdhsa_forward_progress 0
		.amdhsa_shared_vgpr_count 0
		.amdhsa_exception_fp_ieee_invalid_op 0
		.amdhsa_exception_fp_denorm_src 0
		.amdhsa_exception_fp_ieee_div_zero 0
		.amdhsa_exception_fp_ieee_overflow 0
		.amdhsa_exception_fp_ieee_underflow 0
		.amdhsa_exception_fp_ieee_inexact 0
		.amdhsa_exception_int_div_zero 0
	.end_amdhsa_kernel
	.section	.text._ZN7rocprim6detail19block_reduce_kernelILb1ELb0ELj8ENS0_21wrapped_reduce_configINS_14default_configEdEEdPdS5_dN6thrust4plusIdEEEEvT4_mT5_T6_T7_,"axG",@progbits,_ZN7rocprim6detail19block_reduce_kernelILb1ELb0ELj8ENS0_21wrapped_reduce_configINS_14default_configEdEEdPdS5_dN6thrust4plusIdEEEEvT4_mT5_T6_T7_,comdat
.Lfunc_end9:
	.size	_ZN7rocprim6detail19block_reduce_kernelILb1ELb0ELj8ENS0_21wrapped_reduce_configINS_14default_configEdEEdPdS5_dN6thrust4plusIdEEEEvT4_mT5_T6_T7_, .Lfunc_end9-_ZN7rocprim6detail19block_reduce_kernelILb1ELb0ELj8ENS0_21wrapped_reduce_configINS_14default_configEdEEdPdS5_dN6thrust4plusIdEEEEvT4_mT5_T6_T7_
                                        ; -- End function
	.section	.AMDGPU.csdata,"",@progbits
; Kernel info:
; codeLenInByte = 1328
; NumSgprs: 18
; NumVgprs: 8
; ScratchSize: 0
; MemoryBound: 0
; FloatMode: 240
; IeeeMode: 1
; LDSByteSize: 128 bytes/workgroup (compile time only)
; SGPRBlocks: 2
; VGPRBlocks: 0
; NumSGPRsForWavesPerEU: 18
; NumVGPRsForWavesPerEU: 8
; Occupancy: 16
; WaveLimiterHint : 0
; COMPUTE_PGM_RSRC2:SCRATCH_EN: 0
; COMPUTE_PGM_RSRC2:USER_SGPR: 6
; COMPUTE_PGM_RSRC2:TRAP_HANDLER: 0
; COMPUTE_PGM_RSRC2:TGID_X_EN: 1
; COMPUTE_PGM_RSRC2:TGID_Y_EN: 0
; COMPUTE_PGM_RSRC2:TGID_Z_EN: 0
; COMPUTE_PGM_RSRC2:TIDIG_COMP_CNT: 0
	.section	.text._ZN7rocprim6detail19block_reduce_kernelILb1ELb0ELj4ENS0_21wrapped_reduce_configINS_14default_configEdEEdPdS5_dN6thrust4plusIdEEEEvT4_mT5_T6_T7_,"axG",@progbits,_ZN7rocprim6detail19block_reduce_kernelILb1ELb0ELj4ENS0_21wrapped_reduce_configINS_14default_configEdEEdPdS5_dN6thrust4plusIdEEEEvT4_mT5_T6_T7_,comdat
	.protected	_ZN7rocprim6detail19block_reduce_kernelILb1ELb0ELj4ENS0_21wrapped_reduce_configINS_14default_configEdEEdPdS5_dN6thrust4plusIdEEEEvT4_mT5_T6_T7_ ; -- Begin function _ZN7rocprim6detail19block_reduce_kernelILb1ELb0ELj4ENS0_21wrapped_reduce_configINS_14default_configEdEEdPdS5_dN6thrust4plusIdEEEEvT4_mT5_T6_T7_
	.globl	_ZN7rocprim6detail19block_reduce_kernelILb1ELb0ELj4ENS0_21wrapped_reduce_configINS_14default_configEdEEdPdS5_dN6thrust4plusIdEEEEvT4_mT5_T6_T7_
	.p2align	8
	.type	_ZN7rocprim6detail19block_reduce_kernelILb1ELb0ELj4ENS0_21wrapped_reduce_configINS_14default_configEdEEdPdS5_dN6thrust4plusIdEEEEvT4_mT5_T6_T7_,@function
_ZN7rocprim6detail19block_reduce_kernelILb1ELb0ELj4ENS0_21wrapped_reduce_configINS_14default_configEdEEdPdS5_dN6thrust4plusIdEEEEvT4_mT5_T6_T7_: ; @_ZN7rocprim6detail19block_reduce_kernelILb1ELb0ELj4ENS0_21wrapped_reduce_configINS_14default_configEdEEdPdS5_dN6thrust4plusIdEEEEvT4_mT5_T6_T7_
; %bb.0:
	s_load_dwordx8 s[8:15], s[4:5], 0x0
	s_mov_b32 s1, 0
	s_lshl_b32 s0, s6, 9
	v_lshlrev_b32_e32 v1, 3, v0
	s_lshl_b64 s[2:3], s[0:1], 3
	s_mov_b32 s7, s1
	v_mbcnt_lo_u32_b32 v7, -1, 0
	s_waitcnt lgkmcnt(0)
	s_lshr_b64 s[4:5], s[10:11], 9
	s_add_u32 s1, s8, s2
	s_addc_u32 s2, s9, s3
	v_add_co_u32 v5, s1, s1, v1
	v_add_co_ci_u32_e64 v6, null, s2, 0, s1
	s_cmp_lg_u64 s[4:5], s[6:7]
	s_cbranch_scc0 .LBB10_6
; %bb.1:
	v_add_co_u32 v1, vcc_lo, 0x800, v5
	v_add_co_ci_u32_e32 v2, vcc_lo, 0, v6, vcc_lo
	s_mov_b32 s1, exec_lo
	s_clause 0x1
	global_load_dwordx2 v[3:4], v[5:6], off
	global_load_dwordx2 v[1:2], v[1:2], off
	s_waitcnt vmcnt(0)
	v_add_f64 v[1:2], v[3:4], v[1:2]
	v_mov_b32_dpp v3, v1 quad_perm:[1,0,3,2] row_mask:0xf bank_mask:0xf
	v_mov_b32_dpp v4, v2 quad_perm:[1,0,3,2] row_mask:0xf bank_mask:0xf
	v_add_f64 v[1:2], v[1:2], v[3:4]
	v_mov_b32_dpp v3, v1 quad_perm:[2,3,0,1] row_mask:0xf bank_mask:0xf
	v_mov_b32_dpp v4, v2 quad_perm:[2,3,0,1] row_mask:0xf bank_mask:0xf
	v_add_f64 v[1:2], v[1:2], v[3:4]
	v_mov_b32_dpp v3, v1 row_ror:4 row_mask:0xf bank_mask:0xf
	v_mov_b32_dpp v4, v2 row_ror:4 row_mask:0xf bank_mask:0xf
	v_add_f64 v[1:2], v[1:2], v[3:4]
	v_mov_b32_dpp v3, v1 row_ror:8 row_mask:0xf bank_mask:0xf
	v_mov_b32_dpp v4, v2 row_ror:8 row_mask:0xf bank_mask:0xf
	v_add_f64 v[1:2], v[1:2], v[3:4]
	ds_swizzle_b32 v3, v1 offset:swizzle(BROADCAST,32,15)
	ds_swizzle_b32 v4, v2 offset:swizzle(BROADCAST,32,15)
	s_waitcnt lgkmcnt(0)
	v_add_f64 v[1:2], v[1:2], v[3:4]
	v_mov_b32_e32 v3, 0
	ds_bpermute_b32 v1, v3, v1 offset:124
	ds_bpermute_b32 v2, v3, v2 offset:124
	v_cmpx_eq_u32_e32 0, v7
	s_cbranch_execz .LBB10_3
; %bb.2:
	v_lshrrev_b32_e32 v3, 2, v0
	v_and_b32_e32 v3, 56, v3
	s_waitcnt lgkmcnt(0)
	ds_write_b64 v3, v[1:2]
.LBB10_3:
	s_or_b32 exec_lo, exec_lo, s1
	s_mov_b32 s1, exec_lo
	s_waitcnt lgkmcnt(0)
	s_barrier
	buffer_gl0_inv
	v_cmpx_gt_u32_e32 32, v0
	s_cbranch_execz .LBB10_5
; %bb.4:
	v_and_b32_e32 v8, 7, v7
	v_lshlrev_b32_e32 v1, 3, v8
	v_cmp_ne_u32_e32 vcc_lo, 7, v8
	ds_read_b64 v[1:2], v1
	v_add_co_ci_u32_e32 v3, vcc_lo, 0, v7, vcc_lo
	v_cmp_gt_u32_e32 vcc_lo, 6, v8
	v_lshlrev_b32_e32 v4, 2, v3
	s_waitcnt lgkmcnt(0)
	ds_bpermute_b32 v3, v4, v1
	ds_bpermute_b32 v4, v4, v2
	s_waitcnt lgkmcnt(0)
	v_add_f64 v[1:2], v[1:2], v[3:4]
	v_cndmask_b32_e64 v3, 0, 1, vcc_lo
	v_cmp_gt_u32_e32 vcc_lo, 4, v8
	v_lshlrev_b32_e32 v3, 1, v3
	v_add_lshl_u32 v4, v3, v7, 2
	ds_bpermute_b32 v3, v4, v1
	ds_bpermute_b32 v4, v4, v2
	s_waitcnt lgkmcnt(0)
	v_add_f64 v[1:2], v[1:2], v[3:4]
	v_cndmask_b32_e64 v3, 0, 1, vcc_lo
	v_lshlrev_b32_e32 v3, 2, v3
	v_add_lshl_u32 v4, v3, v7, 2
	ds_bpermute_b32 v3, v4, v1
	ds_bpermute_b32 v4, v4, v2
	s_waitcnt lgkmcnt(0)
	v_add_f64 v[1:2], v[1:2], v[3:4]
.LBB10_5:
	s_or_b32 exec_lo, exec_lo, s1
	s_branch .LBB10_32
.LBB10_6:
                                        ; implicit-def: $vgpr1_vgpr2
	s_cbranch_execz .LBB10_32
; %bb.7:
	s_sub_i32 s1, s10, s0
	s_mov_b32 s0, exec_lo
                                        ; implicit-def: $vgpr1_vgpr2_vgpr3_vgpr4
	v_cmpx_gt_u32_e64 s1, v0
	s_cbranch_execz .LBB10_9
; %bb.8:
	global_load_dwordx2 v[1:2], v[5:6], off
.LBB10_9:
	s_or_b32 exec_lo, exec_lo, s0
	v_or_b32_e32 v8, 0x100, v0
	v_cmp_gt_u32_e32 vcc_lo, s1, v8
	s_and_saveexec_b32 s2, vcc_lo
	s_cbranch_execz .LBB10_11
; %bb.10:
	v_add_co_u32 v3, s0, 0x800, v5
	v_add_co_ci_u32_e64 v4, s0, 0, v6, s0
	global_load_dwordx2 v[3:4], v[3:4], off
.LBB10_11:
	s_or_b32 exec_lo, exec_lo, s2
	s_waitcnt vmcnt(0)
	v_add_f64 v[3:4], v[1:2], v[3:4]
	v_cmp_ne_u32_e64 s0, 31, v7
	v_add_nc_u32_e32 v6, 1, v7
	v_add_co_ci_u32_e64 v5, s0, 0, v7, s0
	s_min_u32 s0, s1, 0x100
	s_mov_b32 s1, exec_lo
	v_lshlrev_b32_e32 v5, 2, v5
	v_cndmask_b32_e32 v1, v1, v3, vcc_lo
	v_cndmask_b32_e32 v2, v2, v4, vcc_lo
	ds_bpermute_b32 v3, v5, v1
	ds_bpermute_b32 v4, v5, v2
	v_and_b32_e32 v5, 0xe0, v0
	v_sub_nc_u32_e64 v5, s0, v5 clamp
	v_cmpx_lt_u32_e64 v6, v5
	s_cbranch_execz .LBB10_13
; %bb.12:
	s_waitcnt lgkmcnt(0)
	v_add_f64 v[1:2], v[1:2], v[3:4]
.LBB10_13:
	s_or_b32 exec_lo, exec_lo, s1
	v_cmp_gt_u32_e32 vcc_lo, 30, v7
	v_add_nc_u32_e32 v6, 2, v7
	s_mov_b32 s1, exec_lo
	s_waitcnt lgkmcnt(1)
	v_cndmask_b32_e64 v3, 0, 1, vcc_lo
	v_lshlrev_b32_e32 v3, 1, v3
	s_waitcnt lgkmcnt(0)
	v_add_lshl_u32 v4, v3, v7, 2
	ds_bpermute_b32 v3, v4, v1
	ds_bpermute_b32 v4, v4, v2
	v_cmpx_lt_u32_e64 v6, v5
	s_cbranch_execz .LBB10_15
; %bb.14:
	s_waitcnt lgkmcnt(0)
	v_add_f64 v[1:2], v[1:2], v[3:4]
.LBB10_15:
	s_or_b32 exec_lo, exec_lo, s1
	v_cmp_gt_u32_e32 vcc_lo, 28, v7
	v_add_nc_u32_e32 v6, 4, v7
	s_mov_b32 s1, exec_lo
	s_waitcnt lgkmcnt(1)
	v_cndmask_b32_e64 v3, 0, 1, vcc_lo
	v_lshlrev_b32_e32 v3, 2, v3
	s_waitcnt lgkmcnt(0)
	v_add_lshl_u32 v4, v3, v7, 2
	ds_bpermute_b32 v3, v4, v1
	ds_bpermute_b32 v4, v4, v2
	;; [unrolled: 17-line block ×4, first 2 shown]
	v_cmpx_lt_u32_e64 v6, v5
	s_cbranch_execz .LBB10_21
; %bb.20:
	s_waitcnt lgkmcnt(0)
	v_add_f64 v[1:2], v[1:2], v[3:4]
.LBB10_21:
	s_or_b32 exec_lo, exec_lo, s1
	s_mov_b32 s1, exec_lo
	v_cmpx_eq_u32_e32 0, v7
	s_cbranch_execz .LBB10_23
; %bb.22:
	s_waitcnt lgkmcnt(1)
	v_lshrrev_b32_e32 v3, 2, v0
	v_and_b32_e32 v3, 56, v3
	ds_write_b64 v3, v[1:2] offset:64
.LBB10_23:
	s_or_b32 exec_lo, exec_lo, s1
	s_mov_b32 s1, exec_lo
	s_waitcnt lgkmcnt(0)
	s_barrier
	buffer_gl0_inv
	v_cmpx_gt_u32_e32 8, v0
	s_cbranch_execz .LBB10_31
; %bb.24:
	v_lshlrev_b32_e32 v1, 3, v7
	v_and_b32_e32 v5, 7, v7
	s_add_i32 s0, s0, 31
	s_mov_b32 s2, exec_lo
	s_lshr_b32 s0, s0, 5
	ds_read_b64 v[1:2], v1 offset:64
	v_cmp_ne_u32_e32 vcc_lo, 7, v5
	v_add_nc_u32_e32 v6, 1, v5
	v_add_co_ci_u32_e32 v3, vcc_lo, 0, v7, vcc_lo
	v_lshlrev_b32_e32 v4, 2, v3
	s_waitcnt lgkmcnt(0)
	ds_bpermute_b32 v3, v4, v1
	ds_bpermute_b32 v4, v4, v2
	v_cmpx_gt_u32_e64 s0, v6
	s_cbranch_execz .LBB10_26
; %bb.25:
	s_waitcnt lgkmcnt(0)
	v_add_f64 v[1:2], v[1:2], v[3:4]
.LBB10_26:
	s_or_b32 exec_lo, exec_lo, s2
	v_cmp_gt_u32_e32 vcc_lo, 6, v5
	v_add_nc_u32_e32 v6, 2, v5
	s_mov_b32 s2, exec_lo
	s_waitcnt lgkmcnt(1)
	v_cndmask_b32_e64 v3, 0, 1, vcc_lo
	v_lshlrev_b32_e32 v3, 1, v3
	s_waitcnt lgkmcnt(0)
	v_add_lshl_u32 v4, v3, v7, 2
	ds_bpermute_b32 v3, v4, v1
	ds_bpermute_b32 v4, v4, v2
	v_cmpx_gt_u32_e64 s0, v6
	s_cbranch_execz .LBB10_28
; %bb.27:
	s_waitcnt lgkmcnt(0)
	v_add_f64 v[1:2], v[1:2], v[3:4]
.LBB10_28:
	s_or_b32 exec_lo, exec_lo, s2
	v_cmp_gt_u32_e32 vcc_lo, 4, v5
	v_add_nc_u32_e32 v5, 4, v5
	s_waitcnt lgkmcnt(1)
	v_cndmask_b32_e64 v3, 0, 1, vcc_lo
	v_cmp_gt_u32_e32 vcc_lo, s0, v5
	v_lshlrev_b32_e32 v3, 2, v3
	s_waitcnt lgkmcnt(0)
	v_add_lshl_u32 v4, v3, v7, 2
	ds_bpermute_b32 v3, v4, v1
	ds_bpermute_b32 v4, v4, v2
	s_and_saveexec_b32 s0, vcc_lo
	s_cbranch_execz .LBB10_30
; %bb.29:
	s_waitcnt lgkmcnt(0)
	v_add_f64 v[1:2], v[1:2], v[3:4]
.LBB10_30:
	s_or_b32 exec_lo, exec_lo, s0
.LBB10_31:
	s_or_b32 exec_lo, exec_lo, s1
.LBB10_32:
	s_mov_b32 s0, exec_lo
	v_cmpx_eq_u32_e32 0, v0
	s_cbranch_execz .LBB10_34
; %bb.33:
	v_add_f64 v[0:1], v[1:2], s[14:15]
	s_lshl_b64 s[0:1], s[6:7], 3
	v_mov_b32_e32 v2, 0
	s_add_u32 s0, s12, s0
	s_addc_u32 s1, s13, s1
	s_cmp_eq_u64 s[10:11], 0
	s_cselect_b32 s2, -1, 0
	v_cndmask_b32_e64 v1, v1, s15, s2
	v_cndmask_b32_e64 v0, v0, s14, s2
	global_store_dwordx2 v2, v[0:1], s[0:1]
.LBB10_34:
	s_endpgm
	.section	.rodata,"a",@progbits
	.p2align	6, 0x0
	.amdhsa_kernel _ZN7rocprim6detail19block_reduce_kernelILb1ELb0ELj4ENS0_21wrapped_reduce_configINS_14default_configEdEEdPdS5_dN6thrust4plusIdEEEEvT4_mT5_T6_T7_
		.amdhsa_group_segment_fixed_size 128
		.amdhsa_private_segment_fixed_size 0
		.amdhsa_kernarg_size 36
		.amdhsa_user_sgpr_count 6
		.amdhsa_user_sgpr_private_segment_buffer 1
		.amdhsa_user_sgpr_dispatch_ptr 0
		.amdhsa_user_sgpr_queue_ptr 0
		.amdhsa_user_sgpr_kernarg_segment_ptr 1
		.amdhsa_user_sgpr_dispatch_id 0
		.amdhsa_user_sgpr_flat_scratch_init 0
		.amdhsa_user_sgpr_private_segment_size 0
		.amdhsa_wavefront_size32 1
		.amdhsa_uses_dynamic_stack 0
		.amdhsa_system_sgpr_private_segment_wavefront_offset 0
		.amdhsa_system_sgpr_workgroup_id_x 1
		.amdhsa_system_sgpr_workgroup_id_y 0
		.amdhsa_system_sgpr_workgroup_id_z 0
		.amdhsa_system_sgpr_workgroup_info 0
		.amdhsa_system_vgpr_workitem_id 0
		.amdhsa_next_free_vgpr 9
		.amdhsa_next_free_sgpr 16
		.amdhsa_reserve_vcc 1
		.amdhsa_reserve_flat_scratch 0
		.amdhsa_float_round_mode_32 0
		.amdhsa_float_round_mode_16_64 0
		.amdhsa_float_denorm_mode_32 3
		.amdhsa_float_denorm_mode_16_64 3
		.amdhsa_dx10_clamp 1
		.amdhsa_ieee_mode 1
		.amdhsa_fp16_overflow 0
		.amdhsa_workgroup_processor_mode 1
		.amdhsa_memory_ordered 1
		.amdhsa_forward_progress 0
		.amdhsa_shared_vgpr_count 0
		.amdhsa_exception_fp_ieee_invalid_op 0
		.amdhsa_exception_fp_denorm_src 0
		.amdhsa_exception_fp_ieee_div_zero 0
		.amdhsa_exception_fp_ieee_overflow 0
		.amdhsa_exception_fp_ieee_underflow 0
		.amdhsa_exception_fp_ieee_inexact 0
		.amdhsa_exception_int_div_zero 0
	.end_amdhsa_kernel
	.section	.text._ZN7rocprim6detail19block_reduce_kernelILb1ELb0ELj4ENS0_21wrapped_reduce_configINS_14default_configEdEEdPdS5_dN6thrust4plusIdEEEEvT4_mT5_T6_T7_,"axG",@progbits,_ZN7rocprim6detail19block_reduce_kernelILb1ELb0ELj4ENS0_21wrapped_reduce_configINS_14default_configEdEEdPdS5_dN6thrust4plusIdEEEEvT4_mT5_T6_T7_,comdat
.Lfunc_end10:
	.size	_ZN7rocprim6detail19block_reduce_kernelILb1ELb0ELj4ENS0_21wrapped_reduce_configINS_14default_configEdEEdPdS5_dN6thrust4plusIdEEEEvT4_mT5_T6_T7_, .Lfunc_end10-_ZN7rocprim6detail19block_reduce_kernelILb1ELb0ELj4ENS0_21wrapped_reduce_configINS_14default_configEdEEdPdS5_dN6thrust4plusIdEEEEvT4_mT5_T6_T7_
                                        ; -- End function
	.section	.AMDGPU.csdata,"",@progbits
; Kernel info:
; codeLenInByte = 1440
; NumSgprs: 18
; NumVgprs: 9
; ScratchSize: 0
; MemoryBound: 1
; FloatMode: 240
; IeeeMode: 1
; LDSByteSize: 128 bytes/workgroup (compile time only)
; SGPRBlocks: 2
; VGPRBlocks: 1
; NumSGPRsForWavesPerEU: 18
; NumVGPRsForWavesPerEU: 9
; Occupancy: 16
; WaveLimiterHint : 1
; COMPUTE_PGM_RSRC2:SCRATCH_EN: 0
; COMPUTE_PGM_RSRC2:USER_SGPR: 6
; COMPUTE_PGM_RSRC2:TRAP_HANDLER: 0
; COMPUTE_PGM_RSRC2:TGID_X_EN: 1
; COMPUTE_PGM_RSRC2:TGID_Y_EN: 0
; COMPUTE_PGM_RSRC2:TGID_Z_EN: 0
; COMPUTE_PGM_RSRC2:TIDIG_COMP_CNT: 0
	.section	.text._ZN7rocprim6detail19block_reduce_kernelILb1ELb0ELj2ENS0_21wrapped_reduce_configINS_14default_configEdEEdPdS5_dN6thrust4plusIdEEEEvT4_mT5_T6_T7_,"axG",@progbits,_ZN7rocprim6detail19block_reduce_kernelILb1ELb0ELj2ENS0_21wrapped_reduce_configINS_14default_configEdEEdPdS5_dN6thrust4plusIdEEEEvT4_mT5_T6_T7_,comdat
	.protected	_ZN7rocprim6detail19block_reduce_kernelILb1ELb0ELj2ENS0_21wrapped_reduce_configINS_14default_configEdEEdPdS5_dN6thrust4plusIdEEEEvT4_mT5_T6_T7_ ; -- Begin function _ZN7rocprim6detail19block_reduce_kernelILb1ELb0ELj2ENS0_21wrapped_reduce_configINS_14default_configEdEEdPdS5_dN6thrust4plusIdEEEEvT4_mT5_T6_T7_
	.globl	_ZN7rocprim6detail19block_reduce_kernelILb1ELb0ELj2ENS0_21wrapped_reduce_configINS_14default_configEdEEdPdS5_dN6thrust4plusIdEEEEvT4_mT5_T6_T7_
	.p2align	8
	.type	_ZN7rocprim6detail19block_reduce_kernelILb1ELb0ELj2ENS0_21wrapped_reduce_configINS_14default_configEdEEdPdS5_dN6thrust4plusIdEEEEvT4_mT5_T6_T7_,@function
_ZN7rocprim6detail19block_reduce_kernelILb1ELb0ELj2ENS0_21wrapped_reduce_configINS_14default_configEdEEdPdS5_dN6thrust4plusIdEEEEvT4_mT5_T6_T7_: ; @_ZN7rocprim6detail19block_reduce_kernelILb1ELb0ELj2ENS0_21wrapped_reduce_configINS_14default_configEdEEdPdS5_dN6thrust4plusIdEEEEvT4_mT5_T6_T7_
; %bb.0:
	s_load_dwordx8 s[8:15], s[4:5], 0x0
	s_mov_b32 s1, 0
	s_lshl_b32 s0, s6, 10
	v_lshlrev_b32_e32 v1, 3, v0
	s_lshl_b64 s[2:3], s[0:1], 3
	s_mov_b32 s7, s1
	v_mbcnt_lo_u32_b32 v11, -1, 0
	s_waitcnt lgkmcnt(0)
	s_lshr_b64 s[4:5], s[10:11], 10
	s_add_u32 s1, s8, s2
	s_addc_u32 s2, s9, s3
	v_add_co_u32 v9, s1, s1, v1
	v_add_co_ci_u32_e64 v10, null, s2, 0, s1
	s_cmp_lg_u64 s[4:5], s[6:7]
	s_cbranch_scc0 .LBB11_6
; %bb.1:
	v_add_co_u32 v1, vcc_lo, v9, 0x1000
	v_add_co_ci_u32_e32 v2, vcc_lo, 0, v10, vcc_lo
	v_add_co_u32 v7, vcc_lo, 0x1800, v9
	s_clause 0x2
	global_load_dwordx2 v[3:4], v[9:10], off
	global_load_dwordx2 v[5:6], v[1:2], off offset:-2048
	global_load_dwordx2 v[1:2], v[1:2], off
	v_add_co_ci_u32_e32 v8, vcc_lo, 0, v10, vcc_lo
	s_mov_b32 s1, exec_lo
	global_load_dwordx2 v[7:8], v[7:8], off
	s_waitcnt vmcnt(2)
	v_add_f64 v[3:4], v[3:4], v[5:6]
	s_waitcnt vmcnt(1)
	v_add_f64 v[1:2], v[3:4], v[1:2]
	;; [unrolled: 2-line block ×3, first 2 shown]
	v_mov_b32_dpp v3, v1 quad_perm:[1,0,3,2] row_mask:0xf bank_mask:0xf
	v_mov_b32_dpp v4, v2 quad_perm:[1,0,3,2] row_mask:0xf bank_mask:0xf
	v_add_f64 v[1:2], v[1:2], v[3:4]
	v_mov_b32_dpp v3, v1 quad_perm:[2,3,0,1] row_mask:0xf bank_mask:0xf
	v_mov_b32_dpp v4, v2 quad_perm:[2,3,0,1] row_mask:0xf bank_mask:0xf
	v_add_f64 v[1:2], v[1:2], v[3:4]
	v_mov_b32_dpp v3, v1 row_ror:4 row_mask:0xf bank_mask:0xf
	v_mov_b32_dpp v4, v2 row_ror:4 row_mask:0xf bank_mask:0xf
	v_add_f64 v[1:2], v[1:2], v[3:4]
	v_mov_b32_dpp v3, v1 row_ror:8 row_mask:0xf bank_mask:0xf
	v_mov_b32_dpp v4, v2 row_ror:8 row_mask:0xf bank_mask:0xf
	v_add_f64 v[1:2], v[1:2], v[3:4]
	ds_swizzle_b32 v3, v1 offset:swizzle(BROADCAST,32,15)
	ds_swizzle_b32 v4, v2 offset:swizzle(BROADCAST,32,15)
	s_waitcnt lgkmcnt(0)
	v_add_f64 v[1:2], v[1:2], v[3:4]
	v_mov_b32_e32 v3, 0
	ds_bpermute_b32 v1, v3, v1 offset:124
	ds_bpermute_b32 v2, v3, v2 offset:124
	v_cmpx_eq_u32_e32 0, v11
	s_cbranch_execz .LBB11_3
; %bb.2:
	v_lshrrev_b32_e32 v3, 2, v0
	v_and_b32_e32 v3, 56, v3
	s_waitcnt lgkmcnt(0)
	ds_write_b64 v3, v[1:2]
.LBB11_3:
	s_or_b32 exec_lo, exec_lo, s1
	s_mov_b32 s1, exec_lo
	s_waitcnt lgkmcnt(0)
	s_barrier
	buffer_gl0_inv
	v_cmpx_gt_u32_e32 32, v0
	s_cbranch_execz .LBB11_5
; %bb.4:
	v_and_b32_e32 v5, 7, v11
	v_lshlrev_b32_e32 v1, 3, v5
	v_cmp_ne_u32_e32 vcc_lo, 7, v5
	ds_read_b64 v[1:2], v1
	v_add_co_ci_u32_e32 v3, vcc_lo, 0, v11, vcc_lo
	v_cmp_gt_u32_e32 vcc_lo, 6, v5
	v_lshlrev_b32_e32 v4, 2, v3
	s_waitcnt lgkmcnt(0)
	ds_bpermute_b32 v3, v4, v1
	ds_bpermute_b32 v4, v4, v2
	s_waitcnt lgkmcnt(0)
	v_add_f64 v[1:2], v[1:2], v[3:4]
	v_cndmask_b32_e64 v3, 0, 1, vcc_lo
	v_cmp_gt_u32_e32 vcc_lo, 4, v5
	v_lshlrev_b32_e32 v3, 1, v3
	v_add_lshl_u32 v4, v3, v11, 2
	ds_bpermute_b32 v3, v4, v1
	ds_bpermute_b32 v4, v4, v2
	s_waitcnt lgkmcnt(0)
	v_add_f64 v[1:2], v[1:2], v[3:4]
	v_cndmask_b32_e64 v3, 0, 1, vcc_lo
	v_lshlrev_b32_e32 v3, 2, v3
	v_add_lshl_u32 v4, v3, v11, 2
	ds_bpermute_b32 v3, v4, v1
	ds_bpermute_b32 v4, v4, v2
	s_waitcnt lgkmcnt(0)
	v_add_f64 v[1:2], v[1:2], v[3:4]
.LBB11_5:
	s_or_b32 exec_lo, exec_lo, s1
	s_branch .LBB11_36
.LBB11_6:
                                        ; implicit-def: $vgpr1_vgpr2
	s_cbranch_execz .LBB11_36
; %bb.7:
	s_sub_i32 s3, s10, s0
	s_mov_b32 s0, exec_lo
                                        ; implicit-def: $vgpr1_vgpr2_vgpr3_vgpr4_vgpr5_vgpr6_vgpr7_vgpr8
	v_cmpx_gt_u32_e64 s3, v0
	s_cbranch_execz .LBB11_9
; %bb.8:
	global_load_dwordx2 v[1:2], v[9:10], off
.LBB11_9:
	s_or_b32 exec_lo, exec_lo, s0
	v_or_b32_e32 v12, 0x100, v0
	v_cmp_gt_u32_e32 vcc_lo, s3, v12
	s_and_saveexec_b32 s1, vcc_lo
	s_cbranch_execz .LBB11_11
; %bb.10:
	v_add_co_u32 v3, s0, 0x800, v9
	v_add_co_ci_u32_e64 v4, s0, 0, v10, s0
	global_load_dwordx2 v[3:4], v[3:4], off
.LBB11_11:
	s_or_b32 exec_lo, exec_lo, s1
	v_or_b32_e32 v12, 0x200, v0
	v_cmp_gt_u32_e64 s0, s3, v12
	s_and_saveexec_b32 s2, s0
	s_cbranch_execz .LBB11_13
; %bb.12:
	v_add_co_u32 v5, s1, 0x1000, v9
	v_add_co_ci_u32_e64 v6, s1, 0, v10, s1
	global_load_dwordx2 v[5:6], v[5:6], off
.LBB11_13:
	s_or_b32 exec_lo, exec_lo, s2
	v_or_b32_e32 v12, 0x300, v0
	v_cmp_gt_u32_e64 s1, s3, v12
	s_and_saveexec_b32 s4, s1
	s_cbranch_execz .LBB11_15
; %bb.14:
	v_add_co_u32 v7, s2, 0x1800, v9
	v_add_co_ci_u32_e64 v8, s2, 0, v10, s2
	global_load_dwordx2 v[7:8], v[7:8], off
.LBB11_15:
	s_or_b32 exec_lo, exec_lo, s4
	s_waitcnt vmcnt(0)
	v_add_f64 v[3:4], v[1:2], v[3:4]
	v_cndmask_b32_e32 v2, v2, v4, vcc_lo
	v_cndmask_b32_e32 v1, v1, v3, vcc_lo
	v_cmp_ne_u32_e32 vcc_lo, 31, v11
	v_add_f64 v[3:4], v[5:6], v[1:2]
	v_add_co_ci_u32_e32 v5, vcc_lo, 0, v11, vcc_lo
	v_add_nc_u32_e32 v6, 1, v11
	v_lshlrev_b32_e32 v5, 2, v5
	v_cndmask_b32_e64 v2, v2, v4, s0
	v_cndmask_b32_e64 v1, v1, v3, s0
	s_min_u32 s0, s3, 0x100
	v_add_f64 v[3:4], v[7:8], v[1:2]
	v_cndmask_b32_e64 v1, v1, v3, s1
	v_cndmask_b32_e64 v2, v2, v4, s1
	s_mov_b32 s1, exec_lo
	ds_bpermute_b32 v3, v5, v1
	ds_bpermute_b32 v4, v5, v2
	v_and_b32_e32 v5, 0xe0, v0
	v_sub_nc_u32_e64 v5, s0, v5 clamp
	v_cmpx_lt_u32_e64 v6, v5
	s_cbranch_execz .LBB11_17
; %bb.16:
	s_waitcnt lgkmcnt(0)
	v_add_f64 v[1:2], v[1:2], v[3:4]
.LBB11_17:
	s_or_b32 exec_lo, exec_lo, s1
	v_cmp_gt_u32_e32 vcc_lo, 30, v11
	v_add_nc_u32_e32 v6, 2, v11
	s_mov_b32 s1, exec_lo
	s_waitcnt lgkmcnt(1)
	v_cndmask_b32_e64 v3, 0, 1, vcc_lo
	v_lshlrev_b32_e32 v3, 1, v3
	s_waitcnt lgkmcnt(0)
	v_add_lshl_u32 v4, v3, v11, 2
	ds_bpermute_b32 v3, v4, v1
	ds_bpermute_b32 v4, v4, v2
	v_cmpx_lt_u32_e64 v6, v5
	s_cbranch_execz .LBB11_19
; %bb.18:
	s_waitcnt lgkmcnt(0)
	v_add_f64 v[1:2], v[1:2], v[3:4]
.LBB11_19:
	s_or_b32 exec_lo, exec_lo, s1
	v_cmp_gt_u32_e32 vcc_lo, 28, v11
	v_add_nc_u32_e32 v6, 4, v11
	s_mov_b32 s1, exec_lo
	s_waitcnt lgkmcnt(1)
	v_cndmask_b32_e64 v3, 0, 1, vcc_lo
	v_lshlrev_b32_e32 v3, 2, v3
	s_waitcnt lgkmcnt(0)
	v_add_lshl_u32 v4, v3, v11, 2
	ds_bpermute_b32 v3, v4, v1
	ds_bpermute_b32 v4, v4, v2
	;; [unrolled: 17-line block ×4, first 2 shown]
	v_cmpx_lt_u32_e64 v6, v5
	s_cbranch_execz .LBB11_25
; %bb.24:
	s_waitcnt lgkmcnt(0)
	v_add_f64 v[1:2], v[1:2], v[3:4]
.LBB11_25:
	s_or_b32 exec_lo, exec_lo, s1
	s_mov_b32 s1, exec_lo
	v_cmpx_eq_u32_e32 0, v11
	s_cbranch_execz .LBB11_27
; %bb.26:
	s_waitcnt lgkmcnt(1)
	v_lshrrev_b32_e32 v3, 2, v0
	v_and_b32_e32 v3, 56, v3
	ds_write_b64 v3, v[1:2] offset:64
.LBB11_27:
	s_or_b32 exec_lo, exec_lo, s1
	s_mov_b32 s1, exec_lo
	s_waitcnt lgkmcnt(0)
	s_barrier
	buffer_gl0_inv
	v_cmpx_gt_u32_e32 8, v0
	s_cbranch_execz .LBB11_35
; %bb.28:
	v_lshlrev_b32_e32 v1, 3, v11
	v_and_b32_e32 v5, 7, v11
	s_add_i32 s0, s0, 31
	s_mov_b32 s2, exec_lo
	s_lshr_b32 s0, s0, 5
	ds_read_b64 v[1:2], v1 offset:64
	v_cmp_ne_u32_e32 vcc_lo, 7, v5
	v_add_nc_u32_e32 v6, 1, v5
	v_add_co_ci_u32_e32 v3, vcc_lo, 0, v11, vcc_lo
	v_lshlrev_b32_e32 v4, 2, v3
	s_waitcnt lgkmcnt(0)
	ds_bpermute_b32 v3, v4, v1
	ds_bpermute_b32 v4, v4, v2
	v_cmpx_gt_u32_e64 s0, v6
	s_cbranch_execz .LBB11_30
; %bb.29:
	s_waitcnt lgkmcnt(0)
	v_add_f64 v[1:2], v[1:2], v[3:4]
.LBB11_30:
	s_or_b32 exec_lo, exec_lo, s2
	v_cmp_gt_u32_e32 vcc_lo, 6, v5
	v_add_nc_u32_e32 v6, 2, v5
	s_mov_b32 s2, exec_lo
	s_waitcnt lgkmcnt(1)
	v_cndmask_b32_e64 v3, 0, 1, vcc_lo
	v_lshlrev_b32_e32 v3, 1, v3
	s_waitcnt lgkmcnt(0)
	v_add_lshl_u32 v4, v3, v11, 2
	ds_bpermute_b32 v3, v4, v1
	ds_bpermute_b32 v4, v4, v2
	v_cmpx_gt_u32_e64 s0, v6
	s_cbranch_execz .LBB11_32
; %bb.31:
	s_waitcnt lgkmcnt(0)
	v_add_f64 v[1:2], v[1:2], v[3:4]
.LBB11_32:
	s_or_b32 exec_lo, exec_lo, s2
	v_cmp_gt_u32_e32 vcc_lo, 4, v5
	v_add_nc_u32_e32 v5, 4, v5
	s_waitcnt lgkmcnt(1)
	v_cndmask_b32_e64 v3, 0, 1, vcc_lo
	v_cmp_gt_u32_e32 vcc_lo, s0, v5
	v_lshlrev_b32_e32 v3, 2, v3
	s_waitcnt lgkmcnt(0)
	v_add_lshl_u32 v4, v3, v11, 2
	ds_bpermute_b32 v3, v4, v1
	ds_bpermute_b32 v4, v4, v2
	s_and_saveexec_b32 s0, vcc_lo
	s_cbranch_execz .LBB11_34
; %bb.33:
	s_waitcnt lgkmcnt(0)
	v_add_f64 v[1:2], v[1:2], v[3:4]
.LBB11_34:
	s_or_b32 exec_lo, exec_lo, s0
.LBB11_35:
	s_or_b32 exec_lo, exec_lo, s1
.LBB11_36:
	s_mov_b32 s0, exec_lo
	v_cmpx_eq_u32_e32 0, v0
	s_cbranch_execz .LBB11_38
; %bb.37:
	v_add_f64 v[0:1], v[1:2], s[14:15]
	s_lshl_b64 s[0:1], s[6:7], 3
	v_mov_b32_e32 v2, 0
	s_add_u32 s0, s12, s0
	s_addc_u32 s1, s13, s1
	s_cmp_eq_u64 s[10:11], 0
	s_cselect_b32 s2, -1, 0
	v_cndmask_b32_e64 v1, v1, s15, s2
	v_cndmask_b32_e64 v0, v0, s14, s2
	global_store_dwordx2 v2, v[0:1], s[0:1]
.LBB11_38:
	s_endpgm
	.section	.rodata,"a",@progbits
	.p2align	6, 0x0
	.amdhsa_kernel _ZN7rocprim6detail19block_reduce_kernelILb1ELb0ELj2ENS0_21wrapped_reduce_configINS_14default_configEdEEdPdS5_dN6thrust4plusIdEEEEvT4_mT5_T6_T7_
		.amdhsa_group_segment_fixed_size 128
		.amdhsa_private_segment_fixed_size 0
		.amdhsa_kernarg_size 36
		.amdhsa_user_sgpr_count 6
		.amdhsa_user_sgpr_private_segment_buffer 1
		.amdhsa_user_sgpr_dispatch_ptr 0
		.amdhsa_user_sgpr_queue_ptr 0
		.amdhsa_user_sgpr_kernarg_segment_ptr 1
		.amdhsa_user_sgpr_dispatch_id 0
		.amdhsa_user_sgpr_flat_scratch_init 0
		.amdhsa_user_sgpr_private_segment_size 0
		.amdhsa_wavefront_size32 1
		.amdhsa_uses_dynamic_stack 0
		.amdhsa_system_sgpr_private_segment_wavefront_offset 0
		.amdhsa_system_sgpr_workgroup_id_x 1
		.amdhsa_system_sgpr_workgroup_id_y 0
		.amdhsa_system_sgpr_workgroup_id_z 0
		.amdhsa_system_sgpr_workgroup_info 0
		.amdhsa_system_vgpr_workitem_id 0
		.amdhsa_next_free_vgpr 13
		.amdhsa_next_free_sgpr 16
		.amdhsa_reserve_vcc 1
		.amdhsa_reserve_flat_scratch 0
		.amdhsa_float_round_mode_32 0
		.amdhsa_float_round_mode_16_64 0
		.amdhsa_float_denorm_mode_32 3
		.amdhsa_float_denorm_mode_16_64 3
		.amdhsa_dx10_clamp 1
		.amdhsa_ieee_mode 1
		.amdhsa_fp16_overflow 0
		.amdhsa_workgroup_processor_mode 1
		.amdhsa_memory_ordered 1
		.amdhsa_forward_progress 0
		.amdhsa_shared_vgpr_count 0
		.amdhsa_exception_fp_ieee_invalid_op 0
		.amdhsa_exception_fp_denorm_src 0
		.amdhsa_exception_fp_ieee_div_zero 0
		.amdhsa_exception_fp_ieee_overflow 0
		.amdhsa_exception_fp_ieee_underflow 0
		.amdhsa_exception_fp_ieee_inexact 0
		.amdhsa_exception_int_div_zero 0
	.end_amdhsa_kernel
	.section	.text._ZN7rocprim6detail19block_reduce_kernelILb1ELb0ELj2ENS0_21wrapped_reduce_configINS_14default_configEdEEdPdS5_dN6thrust4plusIdEEEEvT4_mT5_T6_T7_,"axG",@progbits,_ZN7rocprim6detail19block_reduce_kernelILb1ELb0ELj2ENS0_21wrapped_reduce_configINS_14default_configEdEEdPdS5_dN6thrust4plusIdEEEEvT4_mT5_T6_T7_,comdat
.Lfunc_end11:
	.size	_ZN7rocprim6detail19block_reduce_kernelILb1ELb0ELj2ENS0_21wrapped_reduce_configINS_14default_configEdEEdPdS5_dN6thrust4plusIdEEEEvT4_mT5_T6_T7_, .Lfunc_end11-_ZN7rocprim6detail19block_reduce_kernelILb1ELb0ELj2ENS0_21wrapped_reduce_configINS_14default_configEdEEdPdS5_dN6thrust4plusIdEEEEvT4_mT5_T6_T7_
                                        ; -- End function
	.section	.AMDGPU.csdata,"",@progbits
; Kernel info:
; codeLenInByte = 1648
; NumSgprs: 18
; NumVgprs: 13
; ScratchSize: 0
; MemoryBound: 1
; FloatMode: 240
; IeeeMode: 1
; LDSByteSize: 128 bytes/workgroup (compile time only)
; SGPRBlocks: 2
; VGPRBlocks: 1
; NumSGPRsForWavesPerEU: 18
; NumVGPRsForWavesPerEU: 13
; Occupancy: 16
; WaveLimiterHint : 1
; COMPUTE_PGM_RSRC2:SCRATCH_EN: 0
; COMPUTE_PGM_RSRC2:USER_SGPR: 6
; COMPUTE_PGM_RSRC2:TRAP_HANDLER: 0
; COMPUTE_PGM_RSRC2:TGID_X_EN: 1
; COMPUTE_PGM_RSRC2:TGID_Y_EN: 0
; COMPUTE_PGM_RSRC2:TGID_Z_EN: 0
; COMPUTE_PGM_RSRC2:TIDIG_COMP_CNT: 0
	.section	.text._ZN7rocprim6detail19block_reduce_kernelILb1ELb0ELj1ENS0_21wrapped_reduce_configINS_14default_configEdEEdPdS5_dN6thrust4plusIdEEEEvT4_mT5_T6_T7_,"axG",@progbits,_ZN7rocprim6detail19block_reduce_kernelILb1ELb0ELj1ENS0_21wrapped_reduce_configINS_14default_configEdEEdPdS5_dN6thrust4plusIdEEEEvT4_mT5_T6_T7_,comdat
	.protected	_ZN7rocprim6detail19block_reduce_kernelILb1ELb0ELj1ENS0_21wrapped_reduce_configINS_14default_configEdEEdPdS5_dN6thrust4plusIdEEEEvT4_mT5_T6_T7_ ; -- Begin function _ZN7rocprim6detail19block_reduce_kernelILb1ELb0ELj1ENS0_21wrapped_reduce_configINS_14default_configEdEEdPdS5_dN6thrust4plusIdEEEEvT4_mT5_T6_T7_
	.globl	_ZN7rocprim6detail19block_reduce_kernelILb1ELb0ELj1ENS0_21wrapped_reduce_configINS_14default_configEdEEdPdS5_dN6thrust4plusIdEEEEvT4_mT5_T6_T7_
	.p2align	8
	.type	_ZN7rocprim6detail19block_reduce_kernelILb1ELb0ELj1ENS0_21wrapped_reduce_configINS_14default_configEdEEdPdS5_dN6thrust4plusIdEEEEvT4_mT5_T6_T7_,@function
_ZN7rocprim6detail19block_reduce_kernelILb1ELb0ELj1ENS0_21wrapped_reduce_configINS_14default_configEdEEdPdS5_dN6thrust4plusIdEEEEvT4_mT5_T6_T7_: ; @_ZN7rocprim6detail19block_reduce_kernelILb1ELb0ELj1ENS0_21wrapped_reduce_configINS_14default_configEdEEdPdS5_dN6thrust4plusIdEEEEvT4_mT5_T6_T7_
; %bb.0:
	s_load_dwordx8 s[8:15], s[4:5], 0x0
	s_mov_b32 s1, 0
	s_lshl_b32 s0, s6, 11
	v_lshlrev_b32_e32 v1, 3, v0
	s_lshl_b64 s[2:3], s[0:1], 3
	s_mov_b32 s7, s1
	v_mbcnt_lo_u32_b32 v19, -1, 0
	s_waitcnt lgkmcnt(0)
	s_lshr_b64 s[4:5], s[10:11], 11
	s_add_u32 s1, s8, s2
	s_addc_u32 s2, s9, s3
	v_add_co_u32 v17, s1, s1, v1
	v_add_co_ci_u32_e64 v18, null, s2, 0, s1
	s_cmp_lg_u64 s[4:5], s[6:7]
	s_cbranch_scc0 .LBB12_6
; %bb.1:
	v_add_co_u32 v1, vcc_lo, v17, 0x1000
	v_add_co_ci_u32_e32 v2, vcc_lo, 0, v18, vcc_lo
	v_add_co_u32 v7, vcc_lo, v17, 0x2000
	s_clause 0x2
	global_load_dwordx2 v[3:4], v[17:18], off
	global_load_dwordx2 v[5:6], v[1:2], off offset:-2048
	global_load_dwordx2 v[1:2], v[1:2], off
	v_add_co_ci_u32_e32 v8, vcc_lo, 0, v18, vcc_lo
	v_add_co_u32 v11, vcc_lo, v17, 0x3000
	s_clause 0x1
	global_load_dwordx2 v[9:10], v[7:8], off offset:-2048
	global_load_dwordx2 v[7:8], v[7:8], off
	v_add_co_ci_u32_e32 v12, vcc_lo, 0, v18, vcc_lo
	s_clause 0x1
	global_load_dwordx2 v[13:14], v[11:12], off offset:-2048
	global_load_dwordx2 v[11:12], v[11:12], off
	v_add_co_u32 v15, vcc_lo, 0x3800, v17
	v_add_co_ci_u32_e32 v16, vcc_lo, 0, v18, vcc_lo
	s_mov_b32 s1, exec_lo
	global_load_dwordx2 v[15:16], v[15:16], off
	s_waitcnt vmcnt(6)
	v_add_f64 v[3:4], v[3:4], v[5:6]
	s_waitcnt vmcnt(5)
	v_add_f64 v[1:2], v[3:4], v[1:2]
	;; [unrolled: 2-line block ×7, first 2 shown]
	v_mov_b32_dpp v3, v1 quad_perm:[1,0,3,2] row_mask:0xf bank_mask:0xf
	v_mov_b32_dpp v4, v2 quad_perm:[1,0,3,2] row_mask:0xf bank_mask:0xf
	v_add_f64 v[1:2], v[1:2], v[3:4]
	v_mov_b32_dpp v3, v1 quad_perm:[2,3,0,1] row_mask:0xf bank_mask:0xf
	v_mov_b32_dpp v4, v2 quad_perm:[2,3,0,1] row_mask:0xf bank_mask:0xf
	v_add_f64 v[1:2], v[1:2], v[3:4]
	v_mov_b32_dpp v3, v1 row_ror:4 row_mask:0xf bank_mask:0xf
	v_mov_b32_dpp v4, v2 row_ror:4 row_mask:0xf bank_mask:0xf
	v_add_f64 v[1:2], v[1:2], v[3:4]
	v_mov_b32_dpp v3, v1 row_ror:8 row_mask:0xf bank_mask:0xf
	v_mov_b32_dpp v4, v2 row_ror:8 row_mask:0xf bank_mask:0xf
	v_add_f64 v[1:2], v[1:2], v[3:4]
	ds_swizzle_b32 v3, v1 offset:swizzle(BROADCAST,32,15)
	ds_swizzle_b32 v4, v2 offset:swizzle(BROADCAST,32,15)
	s_waitcnt lgkmcnt(0)
	v_add_f64 v[1:2], v[1:2], v[3:4]
	v_mov_b32_e32 v3, 0
	ds_bpermute_b32 v1, v3, v1 offset:124
	ds_bpermute_b32 v2, v3, v2 offset:124
	v_cmpx_eq_u32_e32 0, v19
	s_cbranch_execz .LBB12_3
; %bb.2:
	v_lshrrev_b32_e32 v3, 2, v0
	v_and_b32_e32 v3, 56, v3
	s_waitcnt lgkmcnt(0)
	ds_write_b64 v3, v[1:2]
.LBB12_3:
	s_or_b32 exec_lo, exec_lo, s1
	s_mov_b32 s1, exec_lo
	s_waitcnt lgkmcnt(0)
	s_barrier
	buffer_gl0_inv
	v_cmpx_gt_u32_e32 32, v0
	s_cbranch_execz .LBB12_5
; %bb.4:
	v_and_b32_e32 v5, 7, v19
	v_lshlrev_b32_e32 v1, 3, v5
	v_cmp_ne_u32_e32 vcc_lo, 7, v5
	ds_read_b64 v[1:2], v1
	v_add_co_ci_u32_e32 v3, vcc_lo, 0, v19, vcc_lo
	v_cmp_gt_u32_e32 vcc_lo, 6, v5
	v_lshlrev_b32_e32 v4, 2, v3
	s_waitcnt lgkmcnt(0)
	ds_bpermute_b32 v3, v4, v1
	ds_bpermute_b32 v4, v4, v2
	s_waitcnt lgkmcnt(0)
	v_add_f64 v[1:2], v[1:2], v[3:4]
	v_cndmask_b32_e64 v3, 0, 1, vcc_lo
	v_cmp_gt_u32_e32 vcc_lo, 4, v5
	v_lshlrev_b32_e32 v3, 1, v3
	v_add_lshl_u32 v4, v3, v19, 2
	ds_bpermute_b32 v3, v4, v1
	ds_bpermute_b32 v4, v4, v2
	s_waitcnt lgkmcnt(0)
	v_add_f64 v[1:2], v[1:2], v[3:4]
	v_cndmask_b32_e64 v3, 0, 1, vcc_lo
	v_lshlrev_b32_e32 v3, 2, v3
	v_add_lshl_u32 v4, v3, v19, 2
	ds_bpermute_b32 v3, v4, v1
	ds_bpermute_b32 v4, v4, v2
	s_waitcnt lgkmcnt(0)
	v_add_f64 v[1:2], v[1:2], v[3:4]
.LBB12_5:
	s_or_b32 exec_lo, exec_lo, s1
	s_branch .LBB12_44
.LBB12_6:
                                        ; implicit-def: $vgpr1_vgpr2
	s_cbranch_execz .LBB12_44
; %bb.7:
	s_sub_i32 s9, s10, s0
	s_mov_b32 s0, exec_lo
                                        ; implicit-def: $vgpr1_vgpr2_vgpr3_vgpr4_vgpr5_vgpr6_vgpr7_vgpr8_vgpr9_vgpr10_vgpr11_vgpr12_vgpr13_vgpr14_vgpr15_vgpr16
	v_cmpx_gt_u32_e64 s9, v0
	s_cbranch_execz .LBB12_9
; %bb.8:
	global_load_dwordx2 v[1:2], v[17:18], off
.LBB12_9:
	s_or_b32 exec_lo, exec_lo, s0
	v_or_b32_e32 v20, 0x100, v0
	v_cmp_gt_u32_e32 vcc_lo, s9, v20
	s_and_saveexec_b32 s1, vcc_lo
	s_cbranch_execz .LBB12_11
; %bb.10:
	v_add_co_u32 v3, s0, 0x800, v17
	v_add_co_ci_u32_e64 v4, s0, 0, v18, s0
	global_load_dwordx2 v[3:4], v[3:4], off
.LBB12_11:
	s_or_b32 exec_lo, exec_lo, s1
	v_or_b32_e32 v20, 0x200, v0
	v_cmp_gt_u32_e64 s0, s9, v20
	s_and_saveexec_b32 s2, s0
	s_cbranch_execz .LBB12_13
; %bb.12:
	v_add_co_u32 v5, s1, 0x1000, v17
	v_add_co_ci_u32_e64 v6, s1, 0, v18, s1
	global_load_dwordx2 v[5:6], v[5:6], off
.LBB12_13:
	s_or_b32 exec_lo, exec_lo, s2
	v_or_b32_e32 v20, 0x300, v0
	v_cmp_gt_u32_e64 s1, s9, v20
	s_and_saveexec_b32 s3, s1
	;; [unrolled: 10-line block ×6, first 2 shown]
	s_cbranch_execz .LBB12_23
; %bb.22:
	v_add_co_u32 v15, s8, 0x3800, v17
	v_add_co_ci_u32_e64 v16, s8, 0, v18, s8
	global_load_dwordx2 v[15:16], v[15:16], off
.LBB12_23:
	s_or_b32 exec_lo, exec_lo, s16
	s_waitcnt vmcnt(0)
	v_add_f64 v[3:4], v[1:2], v[3:4]
	v_cndmask_b32_e32 v2, v2, v4, vcc_lo
	v_cndmask_b32_e32 v1, v1, v3, vcc_lo
	v_cmp_ne_u32_e32 vcc_lo, 31, v19
	v_add_f64 v[3:4], v[5:6], v[1:2]
	v_add_co_ci_u32_e32 v5, vcc_lo, 0, v19, vcc_lo
	v_add_nc_u32_e32 v6, 1, v19
	v_lshlrev_b32_e32 v5, 2, v5
	v_cndmask_b32_e64 v2, v2, v4, s0
	v_cndmask_b32_e64 v1, v1, v3, s0
	s_min_u32 s0, s9, 0x100
	v_add_f64 v[3:4], v[7:8], v[1:2]
	v_cndmask_b32_e64 v2, v2, v4, s1
	v_cndmask_b32_e64 v1, v1, v3, s1
	s_mov_b32 s1, exec_lo
	v_add_f64 v[3:4], v[9:10], v[1:2]
	v_cndmask_b32_e64 v2, v2, v4, s2
	v_cndmask_b32_e64 v1, v1, v3, s2
	v_add_f64 v[3:4], v[11:12], v[1:2]
	v_cndmask_b32_e64 v2, v2, v4, s3
	v_cndmask_b32_e64 v1, v1, v3, s3
	;; [unrolled: 3-line block ×4, first 2 shown]
	ds_bpermute_b32 v3, v5, v1
	ds_bpermute_b32 v4, v5, v2
	v_and_b32_e32 v5, 0xe0, v0
	v_sub_nc_u32_e64 v5, s0, v5 clamp
	v_cmpx_lt_u32_e64 v6, v5
	s_cbranch_execz .LBB12_25
; %bb.24:
	s_waitcnt lgkmcnt(0)
	v_add_f64 v[1:2], v[1:2], v[3:4]
.LBB12_25:
	s_or_b32 exec_lo, exec_lo, s1
	v_cmp_gt_u32_e32 vcc_lo, 30, v19
	v_add_nc_u32_e32 v6, 2, v19
	s_mov_b32 s1, exec_lo
	s_waitcnt lgkmcnt(1)
	v_cndmask_b32_e64 v3, 0, 1, vcc_lo
	v_lshlrev_b32_e32 v3, 1, v3
	s_waitcnt lgkmcnt(0)
	v_add_lshl_u32 v4, v3, v19, 2
	ds_bpermute_b32 v3, v4, v1
	ds_bpermute_b32 v4, v4, v2
	v_cmpx_lt_u32_e64 v6, v5
	s_cbranch_execz .LBB12_27
; %bb.26:
	s_waitcnt lgkmcnt(0)
	v_add_f64 v[1:2], v[1:2], v[3:4]
.LBB12_27:
	s_or_b32 exec_lo, exec_lo, s1
	v_cmp_gt_u32_e32 vcc_lo, 28, v19
	v_add_nc_u32_e32 v6, 4, v19
	s_mov_b32 s1, exec_lo
	s_waitcnt lgkmcnt(1)
	v_cndmask_b32_e64 v3, 0, 1, vcc_lo
	v_lshlrev_b32_e32 v3, 2, v3
	s_waitcnt lgkmcnt(0)
	v_add_lshl_u32 v4, v3, v19, 2
	ds_bpermute_b32 v3, v4, v1
	ds_bpermute_b32 v4, v4, v2
	;; [unrolled: 17-line block ×4, first 2 shown]
	v_cmpx_lt_u32_e64 v6, v5
	s_cbranch_execz .LBB12_33
; %bb.32:
	s_waitcnt lgkmcnt(0)
	v_add_f64 v[1:2], v[1:2], v[3:4]
.LBB12_33:
	s_or_b32 exec_lo, exec_lo, s1
	s_mov_b32 s1, exec_lo
	v_cmpx_eq_u32_e32 0, v19
	s_cbranch_execz .LBB12_35
; %bb.34:
	s_waitcnt lgkmcnt(1)
	v_lshrrev_b32_e32 v3, 2, v0
	v_and_b32_e32 v3, 56, v3
	ds_write_b64 v3, v[1:2] offset:64
.LBB12_35:
	s_or_b32 exec_lo, exec_lo, s1
	s_mov_b32 s1, exec_lo
	s_waitcnt lgkmcnt(0)
	s_barrier
	buffer_gl0_inv
	v_cmpx_gt_u32_e32 8, v0
	s_cbranch_execz .LBB12_43
; %bb.36:
	v_lshlrev_b32_e32 v1, 3, v19
	v_and_b32_e32 v5, 7, v19
	s_add_i32 s0, s0, 31
	s_mov_b32 s2, exec_lo
	s_lshr_b32 s0, s0, 5
	ds_read_b64 v[1:2], v1 offset:64
	v_cmp_ne_u32_e32 vcc_lo, 7, v5
	v_add_nc_u32_e32 v6, 1, v5
	v_add_co_ci_u32_e32 v3, vcc_lo, 0, v19, vcc_lo
	v_lshlrev_b32_e32 v4, 2, v3
	s_waitcnt lgkmcnt(0)
	ds_bpermute_b32 v3, v4, v1
	ds_bpermute_b32 v4, v4, v2
	v_cmpx_gt_u32_e64 s0, v6
	s_cbranch_execz .LBB12_38
; %bb.37:
	s_waitcnt lgkmcnt(0)
	v_add_f64 v[1:2], v[1:2], v[3:4]
.LBB12_38:
	s_or_b32 exec_lo, exec_lo, s2
	v_cmp_gt_u32_e32 vcc_lo, 6, v5
	v_add_nc_u32_e32 v6, 2, v5
	s_mov_b32 s2, exec_lo
	s_waitcnt lgkmcnt(1)
	v_cndmask_b32_e64 v3, 0, 1, vcc_lo
	v_lshlrev_b32_e32 v3, 1, v3
	s_waitcnt lgkmcnt(0)
	v_add_lshl_u32 v4, v3, v19, 2
	ds_bpermute_b32 v3, v4, v1
	ds_bpermute_b32 v4, v4, v2
	v_cmpx_gt_u32_e64 s0, v6
	s_cbranch_execz .LBB12_40
; %bb.39:
	s_waitcnt lgkmcnt(0)
	v_add_f64 v[1:2], v[1:2], v[3:4]
.LBB12_40:
	s_or_b32 exec_lo, exec_lo, s2
	v_cmp_gt_u32_e32 vcc_lo, 4, v5
	v_add_nc_u32_e32 v5, 4, v5
	s_waitcnt lgkmcnt(1)
	v_cndmask_b32_e64 v3, 0, 1, vcc_lo
	v_cmp_gt_u32_e32 vcc_lo, s0, v5
	v_lshlrev_b32_e32 v3, 2, v3
	s_waitcnt lgkmcnt(0)
	v_add_lshl_u32 v4, v3, v19, 2
	ds_bpermute_b32 v3, v4, v1
	ds_bpermute_b32 v4, v4, v2
	s_and_saveexec_b32 s0, vcc_lo
	s_cbranch_execz .LBB12_42
; %bb.41:
	s_waitcnt lgkmcnt(0)
	v_add_f64 v[1:2], v[1:2], v[3:4]
.LBB12_42:
	s_or_b32 exec_lo, exec_lo, s0
.LBB12_43:
	s_or_b32 exec_lo, exec_lo, s1
.LBB12_44:
	s_mov_b32 s0, exec_lo
	v_cmpx_eq_u32_e32 0, v0
	s_cbranch_execz .LBB12_46
; %bb.45:
	v_add_f64 v[0:1], v[1:2], s[14:15]
	s_lshl_b64 s[0:1], s[6:7], 3
	v_mov_b32_e32 v2, 0
	s_add_u32 s0, s12, s0
	s_addc_u32 s1, s13, s1
	s_cmp_eq_u64 s[10:11], 0
	s_cselect_b32 s2, -1, 0
	v_cndmask_b32_e64 v1, v1, s15, s2
	v_cndmask_b32_e64 v0, v0, s14, s2
	global_store_dwordx2 v2, v[0:1], s[0:1]
.LBB12_46:
	s_endpgm
	.section	.rodata,"a",@progbits
	.p2align	6, 0x0
	.amdhsa_kernel _ZN7rocprim6detail19block_reduce_kernelILb1ELb0ELj1ENS0_21wrapped_reduce_configINS_14default_configEdEEdPdS5_dN6thrust4plusIdEEEEvT4_mT5_T6_T7_
		.amdhsa_group_segment_fixed_size 128
		.amdhsa_private_segment_fixed_size 0
		.amdhsa_kernarg_size 36
		.amdhsa_user_sgpr_count 6
		.amdhsa_user_sgpr_private_segment_buffer 1
		.amdhsa_user_sgpr_dispatch_ptr 0
		.amdhsa_user_sgpr_queue_ptr 0
		.amdhsa_user_sgpr_kernarg_segment_ptr 1
		.amdhsa_user_sgpr_dispatch_id 0
		.amdhsa_user_sgpr_flat_scratch_init 0
		.amdhsa_user_sgpr_private_segment_size 0
		.amdhsa_wavefront_size32 1
		.amdhsa_uses_dynamic_stack 0
		.amdhsa_system_sgpr_private_segment_wavefront_offset 0
		.amdhsa_system_sgpr_workgroup_id_x 1
		.amdhsa_system_sgpr_workgroup_id_y 0
		.amdhsa_system_sgpr_workgroup_id_z 0
		.amdhsa_system_sgpr_workgroup_info 0
		.amdhsa_system_vgpr_workitem_id 0
		.amdhsa_next_free_vgpr 21
		.amdhsa_next_free_sgpr 17
		.amdhsa_reserve_vcc 1
		.amdhsa_reserve_flat_scratch 0
		.amdhsa_float_round_mode_32 0
		.amdhsa_float_round_mode_16_64 0
		.amdhsa_float_denorm_mode_32 3
		.amdhsa_float_denorm_mode_16_64 3
		.amdhsa_dx10_clamp 1
		.amdhsa_ieee_mode 1
		.amdhsa_fp16_overflow 0
		.amdhsa_workgroup_processor_mode 1
		.amdhsa_memory_ordered 1
		.amdhsa_forward_progress 0
		.amdhsa_shared_vgpr_count 0
		.amdhsa_exception_fp_ieee_invalid_op 0
		.amdhsa_exception_fp_denorm_src 0
		.amdhsa_exception_fp_ieee_div_zero 0
		.amdhsa_exception_fp_ieee_overflow 0
		.amdhsa_exception_fp_ieee_underflow 0
		.amdhsa_exception_fp_ieee_inexact 0
		.amdhsa_exception_int_div_zero 0
	.end_amdhsa_kernel
	.section	.text._ZN7rocprim6detail19block_reduce_kernelILb1ELb0ELj1ENS0_21wrapped_reduce_configINS_14default_configEdEEdPdS5_dN6thrust4plusIdEEEEvT4_mT5_T6_T7_,"axG",@progbits,_ZN7rocprim6detail19block_reduce_kernelILb1ELb0ELj1ENS0_21wrapped_reduce_configINS_14default_configEdEEdPdS5_dN6thrust4plusIdEEEEvT4_mT5_T6_T7_,comdat
.Lfunc_end12:
	.size	_ZN7rocprim6detail19block_reduce_kernelILb1ELb0ELj1ENS0_21wrapped_reduce_configINS_14default_configEdEEdPdS5_dN6thrust4plusIdEEEEvT4_mT5_T6_T7_, .Lfunc_end12-_ZN7rocprim6detail19block_reduce_kernelILb1ELb0ELj1ENS0_21wrapped_reduce_configINS_14default_configEdEEdPdS5_dN6thrust4plusIdEEEEvT4_mT5_T6_T7_
                                        ; -- End function
	.section	.AMDGPU.csdata,"",@progbits
; Kernel info:
; codeLenInByte = 2088
; NumSgprs: 19
; NumVgprs: 21
; ScratchSize: 0
; MemoryBound: 1
; FloatMode: 240
; IeeeMode: 1
; LDSByteSize: 128 bytes/workgroup (compile time only)
; SGPRBlocks: 2
; VGPRBlocks: 2
; NumSGPRsForWavesPerEU: 19
; NumVGPRsForWavesPerEU: 21
; Occupancy: 16
; WaveLimiterHint : 1
; COMPUTE_PGM_RSRC2:SCRATCH_EN: 0
; COMPUTE_PGM_RSRC2:USER_SGPR: 6
; COMPUTE_PGM_RSRC2:TRAP_HANDLER: 0
; COMPUTE_PGM_RSRC2:TGID_X_EN: 1
; COMPUTE_PGM_RSRC2:TGID_Y_EN: 0
; COMPUTE_PGM_RSRC2:TGID_Z_EN: 0
; COMPUTE_PGM_RSRC2:TIDIG_COMP_CNT: 0
	.section	.text._ZN7rocprim6detail19block_reduce_kernelILb0ELb1ELj1ENS0_21wrapped_reduce_configINS_14default_configEdEEdN6thrust11hip_rocprim26transform_input_iterator_tIdNS5_6detail15normal_iteratorINS5_10device_ptrIdEEEEZ4mainEUldE_EEPddNS5_4plusIdEEEEvT4_mT5_T6_T7_,"axG",@progbits,_ZN7rocprim6detail19block_reduce_kernelILb0ELb1ELj1ENS0_21wrapped_reduce_configINS_14default_configEdEEdN6thrust11hip_rocprim26transform_input_iterator_tIdNS5_6detail15normal_iteratorINS5_10device_ptrIdEEEEZ4mainEUldE_EEPddNS5_4plusIdEEEEvT4_mT5_T6_T7_,comdat
	.globl	_ZN7rocprim6detail19block_reduce_kernelILb0ELb1ELj1ENS0_21wrapped_reduce_configINS_14default_configEdEEdN6thrust11hip_rocprim26transform_input_iterator_tIdNS5_6detail15normal_iteratorINS5_10device_ptrIdEEEEZ4mainEUldE_EEPddNS5_4plusIdEEEEvT4_mT5_T6_T7_ ; -- Begin function _ZN7rocprim6detail19block_reduce_kernelILb0ELb1ELj1ENS0_21wrapped_reduce_configINS_14default_configEdEEdN6thrust11hip_rocprim26transform_input_iterator_tIdNS5_6detail15normal_iteratorINS5_10device_ptrIdEEEEZ4mainEUldE_EEPddNS5_4plusIdEEEEvT4_mT5_T6_T7_
	.p2align	8
	.type	_ZN7rocprim6detail19block_reduce_kernelILb0ELb1ELj1ENS0_21wrapped_reduce_configINS_14default_configEdEEdN6thrust11hip_rocprim26transform_input_iterator_tIdNS5_6detail15normal_iteratorINS5_10device_ptrIdEEEEZ4mainEUldE_EEPddNS5_4plusIdEEEEvT4_mT5_T6_T7_,@function
_ZN7rocprim6detail19block_reduce_kernelILb0ELb1ELj1ENS0_21wrapped_reduce_configINS_14default_configEdEEdN6thrust11hip_rocprim26transform_input_iterator_tIdNS5_6detail15normal_iteratorINS5_10device_ptrIdEEEEZ4mainEUldE_EEPddNS5_4plusIdEEEEvT4_mT5_T6_T7_: ; @_ZN7rocprim6detail19block_reduce_kernelILb0ELb1ELj1ENS0_21wrapped_reduce_configINS_14default_configEdEEdN6thrust11hip_rocprim26transform_input_iterator_tIdNS5_6detail15normal_iteratorINS5_10device_ptrIdEEEEZ4mainEUldE_EEPddNS5_4plusIdEEEEvT4_mT5_T6_T7_
; %bb.0:
	s_clause 0x2
	s_load_dwordx4 s[12:15], s[4:5], 0x10
	s_load_dwordx2 s[2:3], s[4:5], 0x0
	s_load_dwordx2 s[10:11], s[4:5], 0x20
	s_mov_b32 s1, 0
	s_lshl_b32 s0, s6, 11
	v_lshlrev_b32_e32 v1, 3, v0
	s_lshl_b64 s[4:5], s[0:1], 3
	s_mov_b32 s7, s1
	v_mbcnt_lo_u32_b32 v19, -1, 0
	s_waitcnt lgkmcnt(0)
	s_lshr_b64 s[8:9], s[12:13], 11
	s_add_u32 s1, s2, s4
	s_addc_u32 s2, s3, s5
	v_add_co_u32 v17, s1, s1, v1
	v_add_co_ci_u32_e64 v18, null, s2, 0, s1
	s_cmp_lg_u64 s[8:9], s[6:7]
	s_cbranch_scc0 .LBB13_6
; %bb.1:
	v_add_co_u32 v1, vcc_lo, v17, 0x1000
	v_add_co_ci_u32_e32 v2, vcc_lo, 0, v18, vcc_lo
	v_add_co_u32 v7, vcc_lo, v17, 0x2000
	s_clause 0x2
	global_load_dwordx2 v[3:4], v[17:18], off
	global_load_dwordx2 v[5:6], v[1:2], off offset:-2048
	global_load_dwordx2 v[1:2], v[1:2], off
	v_add_co_ci_u32_e32 v8, vcc_lo, 0, v18, vcc_lo
	v_add_co_u32 v11, vcc_lo, v17, 0x3000
	s_clause 0x1
	global_load_dwordx2 v[9:10], v[7:8], off offset:-2048
	global_load_dwordx2 v[7:8], v[7:8], off
	v_add_co_ci_u32_e32 v12, vcc_lo, 0, v18, vcc_lo
	s_clause 0x1
	global_load_dwordx2 v[13:14], v[11:12], off offset:-2048
	global_load_dwordx2 v[11:12], v[11:12], off
	v_add_co_u32 v15, vcc_lo, 0x3800, v17
	v_add_co_ci_u32_e32 v16, vcc_lo, 0, v18, vcc_lo
	s_mov_b32 s1, exec_lo
	global_load_dwordx2 v[15:16], v[15:16], off
	s_waitcnt vmcnt(6)
	v_add_f64 v[3:4], |v[3:4]|, |v[5:6]|
	s_waitcnt vmcnt(5)
	v_add_f64 v[1:2], v[3:4], |v[1:2]|
	s_waitcnt vmcnt(4)
	v_add_f64 v[1:2], v[1:2], |v[9:10]|
	;; [unrolled: 2-line block ×6, first 2 shown]
	v_mov_b32_dpp v3, v1 quad_perm:[1,0,3,2] row_mask:0xf bank_mask:0xf
	v_mov_b32_dpp v4, v2 quad_perm:[1,0,3,2] row_mask:0xf bank_mask:0xf
	v_add_f64 v[1:2], v[1:2], v[3:4]
	v_mov_b32_dpp v3, v1 quad_perm:[2,3,0,1] row_mask:0xf bank_mask:0xf
	v_mov_b32_dpp v4, v2 quad_perm:[2,3,0,1] row_mask:0xf bank_mask:0xf
	v_add_f64 v[1:2], v[1:2], v[3:4]
	v_mov_b32_dpp v3, v1 row_ror:4 row_mask:0xf bank_mask:0xf
	v_mov_b32_dpp v4, v2 row_ror:4 row_mask:0xf bank_mask:0xf
	v_add_f64 v[1:2], v[1:2], v[3:4]
	v_mov_b32_dpp v3, v1 row_ror:8 row_mask:0xf bank_mask:0xf
	v_mov_b32_dpp v4, v2 row_ror:8 row_mask:0xf bank_mask:0xf
	v_add_f64 v[1:2], v[1:2], v[3:4]
	ds_swizzle_b32 v3, v1 offset:swizzle(BROADCAST,32,15)
	ds_swizzle_b32 v4, v2 offset:swizzle(BROADCAST,32,15)
	s_waitcnt lgkmcnt(0)
	v_add_f64 v[1:2], v[1:2], v[3:4]
	v_mov_b32_e32 v3, 0
	ds_bpermute_b32 v1, v3, v1 offset:124
	ds_bpermute_b32 v2, v3, v2 offset:124
	v_cmpx_eq_u32_e32 0, v19
	s_cbranch_execz .LBB13_3
; %bb.2:
	v_lshrrev_b32_e32 v3, 2, v0
	v_and_b32_e32 v3, 56, v3
	s_waitcnt lgkmcnt(0)
	ds_write_b64 v3, v[1:2]
.LBB13_3:
	s_or_b32 exec_lo, exec_lo, s1
	s_mov_b32 s1, exec_lo
	s_waitcnt lgkmcnt(0)
	s_barrier
	buffer_gl0_inv
	v_cmpx_gt_u32_e32 32, v0
	s_cbranch_execz .LBB13_5
; %bb.4:
	v_and_b32_e32 v5, 7, v19
	v_lshlrev_b32_e32 v1, 3, v5
	v_cmp_ne_u32_e32 vcc_lo, 7, v5
	ds_read_b64 v[1:2], v1
	v_add_co_ci_u32_e32 v3, vcc_lo, 0, v19, vcc_lo
	v_cmp_gt_u32_e32 vcc_lo, 6, v5
	v_lshlrev_b32_e32 v4, 2, v3
	s_waitcnt lgkmcnt(0)
	ds_bpermute_b32 v3, v4, v1
	ds_bpermute_b32 v4, v4, v2
	s_waitcnt lgkmcnt(0)
	v_add_f64 v[1:2], v[1:2], v[3:4]
	v_cndmask_b32_e64 v3, 0, 1, vcc_lo
	v_cmp_gt_u32_e32 vcc_lo, 4, v5
	v_lshlrev_b32_e32 v3, 1, v3
	v_add_lshl_u32 v4, v3, v19, 2
	ds_bpermute_b32 v3, v4, v1
	ds_bpermute_b32 v4, v4, v2
	s_waitcnt lgkmcnt(0)
	v_add_f64 v[1:2], v[1:2], v[3:4]
	v_cndmask_b32_e64 v3, 0, 1, vcc_lo
	v_lshlrev_b32_e32 v3, 2, v3
	v_add_lshl_u32 v4, v3, v19, 2
	ds_bpermute_b32 v3, v4, v1
	ds_bpermute_b32 v4, v4, v2
	s_waitcnt lgkmcnt(0)
	v_add_f64 v[1:2], v[1:2], v[3:4]
.LBB13_5:
	s_or_b32 exec_lo, exec_lo, s1
	s_branch .LBB13_44
.LBB13_6:
                                        ; implicit-def: $vgpr1_vgpr2
	s_cbranch_execz .LBB13_44
; %bb.7:
	s_sub_i32 s9, s12, s0
	s_mov_b32 s0, exec_lo
                                        ; implicit-def: $vgpr1_vgpr2_vgpr3_vgpr4_vgpr5_vgpr6_vgpr7_vgpr8_vgpr9_vgpr10_vgpr11_vgpr12_vgpr13_vgpr14_vgpr15_vgpr16
	v_cmpx_gt_u32_e64 s9, v0
	s_cbranch_execz .LBB13_9
; %bb.8:
	global_load_dwordx2 v[1:2], v[17:18], off
	s_waitcnt vmcnt(0)
	v_and_b32_e32 v2, 0x7fffffff, v2
.LBB13_9:
	s_or_b32 exec_lo, exec_lo, s0
	v_or_b32_e32 v20, 0x100, v0
	v_cmp_gt_u32_e32 vcc_lo, s9, v20
	s_and_saveexec_b32 s1, vcc_lo
	s_cbranch_execz .LBB13_11
; %bb.10:
	v_add_co_u32 v3, s0, 0x800, v17
	v_add_co_ci_u32_e64 v4, s0, 0, v18, s0
	global_load_dwordx2 v[3:4], v[3:4], off
	s_waitcnt vmcnt(0)
	v_and_b32_e32 v4, 0x7fffffff, v4
.LBB13_11:
	s_or_b32 exec_lo, exec_lo, s1
	v_or_b32_e32 v20, 0x200, v0
	v_cmp_gt_u32_e64 s0, s9, v20
	s_and_saveexec_b32 s2, s0
	s_cbranch_execz .LBB13_13
; %bb.12:
	v_add_co_u32 v5, s1, 0x1000, v17
	v_add_co_ci_u32_e64 v6, s1, 0, v18, s1
	global_load_dwordx2 v[5:6], v[5:6], off
	s_waitcnt vmcnt(0)
	v_and_b32_e32 v6, 0x7fffffff, v6
.LBB13_13:
	s_or_b32 exec_lo, exec_lo, s2
	v_or_b32_e32 v20, 0x300, v0
	v_cmp_gt_u32_e64 s1, s9, v20
	s_and_saveexec_b32 s3, s1
	;; [unrolled: 12-line block ×6, first 2 shown]
	s_cbranch_execz .LBB13_23
; %bb.22:
	v_add_co_u32 v15, s8, 0x3800, v17
	v_add_co_ci_u32_e64 v16, s8, 0, v18, s8
	global_load_dwordx2 v[15:16], v[15:16], off
	s_waitcnt vmcnt(0)
	v_and_b32_e32 v16, 0x7fffffff, v16
.LBB13_23:
	s_or_b32 exec_lo, exec_lo, s16
	v_add_f64 v[3:4], v[1:2], v[3:4]
	v_cndmask_b32_e32 v2, v2, v4, vcc_lo
	v_cndmask_b32_e32 v1, v1, v3, vcc_lo
	v_cmp_ne_u32_e32 vcc_lo, 31, v19
	v_add_f64 v[3:4], v[5:6], v[1:2]
	v_add_co_ci_u32_e32 v5, vcc_lo, 0, v19, vcc_lo
	v_add_nc_u32_e32 v6, 1, v19
	v_lshlrev_b32_e32 v5, 2, v5
	v_cndmask_b32_e64 v2, v2, v4, s0
	v_cndmask_b32_e64 v1, v1, v3, s0
	s_min_u32 s0, s9, 0x100
	v_add_f64 v[3:4], v[7:8], v[1:2]
	v_cndmask_b32_e64 v2, v2, v4, s1
	v_cndmask_b32_e64 v1, v1, v3, s1
	s_mov_b32 s1, exec_lo
	v_add_f64 v[3:4], v[9:10], v[1:2]
	v_cndmask_b32_e64 v2, v2, v4, s2
	v_cndmask_b32_e64 v1, v1, v3, s2
	v_add_f64 v[3:4], v[11:12], v[1:2]
	v_cndmask_b32_e64 v2, v2, v4, s3
	v_cndmask_b32_e64 v1, v1, v3, s3
	;; [unrolled: 3-line block ×4, first 2 shown]
	ds_bpermute_b32 v3, v5, v1
	ds_bpermute_b32 v4, v5, v2
	v_and_b32_e32 v5, 0xe0, v0
	v_sub_nc_u32_e64 v5, s0, v5 clamp
	v_cmpx_lt_u32_e64 v6, v5
	s_cbranch_execz .LBB13_25
; %bb.24:
	s_waitcnt lgkmcnt(0)
	v_add_f64 v[1:2], v[1:2], v[3:4]
.LBB13_25:
	s_or_b32 exec_lo, exec_lo, s1
	v_cmp_gt_u32_e32 vcc_lo, 30, v19
	v_add_nc_u32_e32 v6, 2, v19
	s_mov_b32 s1, exec_lo
	s_waitcnt lgkmcnt(1)
	v_cndmask_b32_e64 v3, 0, 1, vcc_lo
	v_lshlrev_b32_e32 v3, 1, v3
	s_waitcnt lgkmcnt(0)
	v_add_lshl_u32 v4, v3, v19, 2
	ds_bpermute_b32 v3, v4, v1
	ds_bpermute_b32 v4, v4, v2
	v_cmpx_lt_u32_e64 v6, v5
	s_cbranch_execz .LBB13_27
; %bb.26:
	s_waitcnt lgkmcnt(0)
	v_add_f64 v[1:2], v[1:2], v[3:4]
.LBB13_27:
	s_or_b32 exec_lo, exec_lo, s1
	v_cmp_gt_u32_e32 vcc_lo, 28, v19
	v_add_nc_u32_e32 v6, 4, v19
	s_mov_b32 s1, exec_lo
	s_waitcnt lgkmcnt(1)
	v_cndmask_b32_e64 v3, 0, 1, vcc_lo
	v_lshlrev_b32_e32 v3, 2, v3
	s_waitcnt lgkmcnt(0)
	v_add_lshl_u32 v4, v3, v19, 2
	ds_bpermute_b32 v3, v4, v1
	ds_bpermute_b32 v4, v4, v2
	;; [unrolled: 17-line block ×4, first 2 shown]
	v_cmpx_lt_u32_e64 v6, v5
	s_cbranch_execz .LBB13_33
; %bb.32:
	s_waitcnt lgkmcnt(0)
	v_add_f64 v[1:2], v[1:2], v[3:4]
.LBB13_33:
	s_or_b32 exec_lo, exec_lo, s1
	s_mov_b32 s1, exec_lo
	v_cmpx_eq_u32_e32 0, v19
	s_cbranch_execz .LBB13_35
; %bb.34:
	s_waitcnt lgkmcnt(1)
	v_lshrrev_b32_e32 v3, 2, v0
	v_and_b32_e32 v3, 56, v3
	ds_write_b64 v3, v[1:2] offset:64
.LBB13_35:
	s_or_b32 exec_lo, exec_lo, s1
	s_mov_b32 s1, exec_lo
	s_waitcnt lgkmcnt(0)
	s_barrier
	buffer_gl0_inv
	v_cmpx_gt_u32_e32 8, v0
	s_cbranch_execz .LBB13_43
; %bb.36:
	v_lshlrev_b32_e32 v1, 3, v19
	v_and_b32_e32 v5, 7, v19
	s_add_i32 s0, s0, 31
	s_mov_b32 s2, exec_lo
	s_lshr_b32 s0, s0, 5
	ds_read_b64 v[1:2], v1 offset:64
	v_cmp_ne_u32_e32 vcc_lo, 7, v5
	v_add_nc_u32_e32 v6, 1, v5
	v_add_co_ci_u32_e32 v3, vcc_lo, 0, v19, vcc_lo
	v_lshlrev_b32_e32 v4, 2, v3
	s_waitcnt lgkmcnt(0)
	ds_bpermute_b32 v3, v4, v1
	ds_bpermute_b32 v4, v4, v2
	v_cmpx_gt_u32_e64 s0, v6
	s_cbranch_execz .LBB13_38
; %bb.37:
	s_waitcnt lgkmcnt(0)
	v_add_f64 v[1:2], v[1:2], v[3:4]
.LBB13_38:
	s_or_b32 exec_lo, exec_lo, s2
	v_cmp_gt_u32_e32 vcc_lo, 6, v5
	v_add_nc_u32_e32 v6, 2, v5
	s_mov_b32 s2, exec_lo
	s_waitcnt lgkmcnt(1)
	v_cndmask_b32_e64 v3, 0, 1, vcc_lo
	v_lshlrev_b32_e32 v3, 1, v3
	s_waitcnt lgkmcnt(0)
	v_add_lshl_u32 v4, v3, v19, 2
	ds_bpermute_b32 v3, v4, v1
	ds_bpermute_b32 v4, v4, v2
	v_cmpx_gt_u32_e64 s0, v6
	s_cbranch_execz .LBB13_40
; %bb.39:
	s_waitcnt lgkmcnt(0)
	v_add_f64 v[1:2], v[1:2], v[3:4]
.LBB13_40:
	s_or_b32 exec_lo, exec_lo, s2
	v_cmp_gt_u32_e32 vcc_lo, 4, v5
	v_add_nc_u32_e32 v5, 4, v5
	s_waitcnt lgkmcnt(1)
	v_cndmask_b32_e64 v3, 0, 1, vcc_lo
	v_cmp_gt_u32_e32 vcc_lo, s0, v5
	v_lshlrev_b32_e32 v3, 2, v3
	s_waitcnt lgkmcnt(0)
	v_add_lshl_u32 v4, v3, v19, 2
	ds_bpermute_b32 v3, v4, v1
	ds_bpermute_b32 v4, v4, v2
	s_and_saveexec_b32 s0, vcc_lo
	s_cbranch_execz .LBB13_42
; %bb.41:
	s_waitcnt lgkmcnt(0)
	v_add_f64 v[1:2], v[1:2], v[3:4]
.LBB13_42:
	s_or_b32 exec_lo, exec_lo, s0
.LBB13_43:
	s_or_b32 exec_lo, exec_lo, s1
.LBB13_44:
	s_mov_b32 s0, exec_lo
	v_cmpx_eq_u32_e32 0, v0
	s_cbranch_execz .LBB13_46
; %bb.45:
	s_lshl_b64 s[0:1], s[6:7], 3
	v_mov_b32_e32 v0, 0
	s_add_u32 s0, s14, s0
	s_addc_u32 s1, s15, s1
	s_cmp_eq_u64 s[12:13], 0
	s_cselect_b32 s2, -1, 0
	v_cndmask_b32_e64 v2, v2, s11, s2
	v_cndmask_b32_e64 v1, v1, s10, s2
	global_store_dwordx2 v0, v[1:2], s[0:1]
.LBB13_46:
	s_endpgm
	.section	.rodata,"a",@progbits
	.p2align	6, 0x0
	.amdhsa_kernel _ZN7rocprim6detail19block_reduce_kernelILb0ELb1ELj1ENS0_21wrapped_reduce_configINS_14default_configEdEEdN6thrust11hip_rocprim26transform_input_iterator_tIdNS5_6detail15normal_iteratorINS5_10device_ptrIdEEEEZ4mainEUldE_EEPddNS5_4plusIdEEEEvT4_mT5_T6_T7_
		.amdhsa_group_segment_fixed_size 128
		.amdhsa_private_segment_fixed_size 0
		.amdhsa_kernarg_size 44
		.amdhsa_user_sgpr_count 6
		.amdhsa_user_sgpr_private_segment_buffer 1
		.amdhsa_user_sgpr_dispatch_ptr 0
		.amdhsa_user_sgpr_queue_ptr 0
		.amdhsa_user_sgpr_kernarg_segment_ptr 1
		.amdhsa_user_sgpr_dispatch_id 0
		.amdhsa_user_sgpr_flat_scratch_init 0
		.amdhsa_user_sgpr_private_segment_size 0
		.amdhsa_wavefront_size32 1
		.amdhsa_uses_dynamic_stack 0
		.amdhsa_system_sgpr_private_segment_wavefront_offset 0
		.amdhsa_system_sgpr_workgroup_id_x 1
		.amdhsa_system_sgpr_workgroup_id_y 0
		.amdhsa_system_sgpr_workgroup_id_z 0
		.amdhsa_system_sgpr_workgroup_info 0
		.amdhsa_system_vgpr_workitem_id 0
		.amdhsa_next_free_vgpr 21
		.amdhsa_next_free_sgpr 17
		.amdhsa_reserve_vcc 1
		.amdhsa_reserve_flat_scratch 0
		.amdhsa_float_round_mode_32 0
		.amdhsa_float_round_mode_16_64 0
		.amdhsa_float_denorm_mode_32 3
		.amdhsa_float_denorm_mode_16_64 3
		.amdhsa_dx10_clamp 1
		.amdhsa_ieee_mode 1
		.amdhsa_fp16_overflow 0
		.amdhsa_workgroup_processor_mode 1
		.amdhsa_memory_ordered 1
		.amdhsa_forward_progress 0
		.amdhsa_shared_vgpr_count 0
		.amdhsa_exception_fp_ieee_invalid_op 0
		.amdhsa_exception_fp_denorm_src 0
		.amdhsa_exception_fp_ieee_div_zero 0
		.amdhsa_exception_fp_ieee_overflow 0
		.amdhsa_exception_fp_ieee_underflow 0
		.amdhsa_exception_fp_ieee_inexact 0
		.amdhsa_exception_int_div_zero 0
	.end_amdhsa_kernel
	.section	.text._ZN7rocprim6detail19block_reduce_kernelILb0ELb1ELj1ENS0_21wrapped_reduce_configINS_14default_configEdEEdN6thrust11hip_rocprim26transform_input_iterator_tIdNS5_6detail15normal_iteratorINS5_10device_ptrIdEEEEZ4mainEUldE_EEPddNS5_4plusIdEEEEvT4_mT5_T6_T7_,"axG",@progbits,_ZN7rocprim6detail19block_reduce_kernelILb0ELb1ELj1ENS0_21wrapped_reduce_configINS_14default_configEdEEdN6thrust11hip_rocprim26transform_input_iterator_tIdNS5_6detail15normal_iteratorINS5_10device_ptrIdEEEEZ4mainEUldE_EEPddNS5_4plusIdEEEEvT4_mT5_T6_T7_,comdat
.Lfunc_end13:
	.size	_ZN7rocprim6detail19block_reduce_kernelILb0ELb1ELj1ENS0_21wrapped_reduce_configINS_14default_configEdEEdN6thrust11hip_rocprim26transform_input_iterator_tIdNS5_6detail15normal_iteratorINS5_10device_ptrIdEEEEZ4mainEUldE_EEPddNS5_4plusIdEEEEvT4_mT5_T6_T7_, .Lfunc_end13-_ZN7rocprim6detail19block_reduce_kernelILb0ELb1ELj1ENS0_21wrapped_reduce_configINS_14default_configEdEEdN6thrust11hip_rocprim26transform_input_iterator_tIdNS5_6detail15normal_iteratorINS5_10device_ptrIdEEEEZ4mainEUldE_EEPddNS5_4plusIdEEEEvT4_mT5_T6_T7_
                                        ; -- End function
	.section	.AMDGPU.csdata,"",@progbits
; Kernel info:
; codeLenInByte = 2192
; NumSgprs: 19
; NumVgprs: 21
; ScratchSize: 0
; MemoryBound: 0
; FloatMode: 240
; IeeeMode: 1
; LDSByteSize: 128 bytes/workgroup (compile time only)
; SGPRBlocks: 2
; VGPRBlocks: 2
; NumSGPRsForWavesPerEU: 19
; NumVGPRsForWavesPerEU: 21
; Occupancy: 16
; WaveLimiterHint : 1
; COMPUTE_PGM_RSRC2:SCRATCH_EN: 0
; COMPUTE_PGM_RSRC2:USER_SGPR: 6
; COMPUTE_PGM_RSRC2:TRAP_HANDLER: 0
; COMPUTE_PGM_RSRC2:TGID_X_EN: 1
; COMPUTE_PGM_RSRC2:TGID_Y_EN: 0
; COMPUTE_PGM_RSRC2:TGID_Z_EN: 0
; COMPUTE_PGM_RSRC2:TIDIG_COMP_CNT: 0
	.section	.text._ZN7rocprim6detail19block_reduce_kernelILb1ELb1ELj2ENS0_21wrapped_reduce_configINS_14default_configEdEEdN6thrust11hip_rocprim26transform_input_iterator_tIdNS5_6detail15normal_iteratorINS5_10device_ptrIdEEEEZ4mainEUldE_EEPddNS5_4plusIdEEEEvT4_mT5_T6_T7_,"axG",@progbits,_ZN7rocprim6detail19block_reduce_kernelILb1ELb1ELj2ENS0_21wrapped_reduce_configINS_14default_configEdEEdN6thrust11hip_rocprim26transform_input_iterator_tIdNS5_6detail15normal_iteratorINS5_10device_ptrIdEEEEZ4mainEUldE_EEPddNS5_4plusIdEEEEvT4_mT5_T6_T7_,comdat
	.globl	_ZN7rocprim6detail19block_reduce_kernelILb1ELb1ELj2ENS0_21wrapped_reduce_configINS_14default_configEdEEdN6thrust11hip_rocprim26transform_input_iterator_tIdNS5_6detail15normal_iteratorINS5_10device_ptrIdEEEEZ4mainEUldE_EEPddNS5_4plusIdEEEEvT4_mT5_T6_T7_ ; -- Begin function _ZN7rocprim6detail19block_reduce_kernelILb1ELb1ELj2ENS0_21wrapped_reduce_configINS_14default_configEdEEdN6thrust11hip_rocprim26transform_input_iterator_tIdNS5_6detail15normal_iteratorINS5_10device_ptrIdEEEEZ4mainEUldE_EEPddNS5_4plusIdEEEEvT4_mT5_T6_T7_
	.p2align	8
	.type	_ZN7rocprim6detail19block_reduce_kernelILb1ELb1ELj2ENS0_21wrapped_reduce_configINS_14default_configEdEEdN6thrust11hip_rocprim26transform_input_iterator_tIdNS5_6detail15normal_iteratorINS5_10device_ptrIdEEEEZ4mainEUldE_EEPddNS5_4plusIdEEEEvT4_mT5_T6_T7_,@function
_ZN7rocprim6detail19block_reduce_kernelILb1ELb1ELj2ENS0_21wrapped_reduce_configINS_14default_configEdEEdN6thrust11hip_rocprim26transform_input_iterator_tIdNS5_6detail15normal_iteratorINS5_10device_ptrIdEEEEZ4mainEUldE_EEPddNS5_4plusIdEEEEvT4_mT5_T6_T7_: ; @_ZN7rocprim6detail19block_reduce_kernelILb1ELb1ELj2ENS0_21wrapped_reduce_configINS_14default_configEdEEdN6thrust11hip_rocprim26transform_input_iterator_tIdNS5_6detail15normal_iteratorINS5_10device_ptrIdEEEEZ4mainEUldE_EEPddNS5_4plusIdEEEEvT4_mT5_T6_T7_
; %bb.0:
	s_clause 0x2
	s_load_dwordx4 s[20:23], s[4:5], 0x10
	s_load_dwordx2 s[2:3], s[4:5], 0x0
	s_load_dwordx2 s[18:19], s[4:5], 0x20
	s_mov_b32 s1, 0
	s_lshl_b32 s0, s6, 12
	v_lshlrev_b32_e32 v1, 3, v0
	s_lshl_b64 s[4:5], s[0:1], 3
	s_mov_b32 s7, s1
	v_mbcnt_lo_u32_b32 v35, -1, 0
	s_waitcnt lgkmcnt(0)
	s_lshr_b64 s[8:9], s[20:21], 12
	s_add_u32 s1, s2, s4
	s_addc_u32 s2, s3, s5
	v_add_co_u32 v33, s1, s1, v1
	v_add_co_ci_u32_e64 v34, null, s2, 0, s1
	s_cmp_lg_u64 s[8:9], s[6:7]
	s_cbranch_scc0 .LBB14_6
; %bb.1:
	v_add_co_u32 v1, vcc_lo, v33, 0x1000
	v_add_co_ci_u32_e32 v2, vcc_lo, 0, v34, vcc_lo
	v_add_co_u32 v7, vcc_lo, v33, 0x2000
	s_clause 0x2
	global_load_dwordx2 v[3:4], v[33:34], off
	global_load_dwordx2 v[5:6], v[1:2], off offset:-2048
	global_load_dwordx2 v[1:2], v[1:2], off
	v_add_co_ci_u32_e32 v8, vcc_lo, 0, v34, vcc_lo
	v_add_co_u32 v11, vcc_lo, v33, 0x3000
	s_clause 0x1
	global_load_dwordx2 v[9:10], v[7:8], off offset:-2048
	global_load_dwordx2 v[7:8], v[7:8], off
	v_add_co_ci_u32_e32 v12, vcc_lo, 0, v34, vcc_lo
	s_clause 0x1
	global_load_dwordx2 v[13:14], v[11:12], off offset:-2048
	global_load_dwordx2 v[11:12], v[11:12], off
	v_add_co_u32 v15, vcc_lo, v33, 0x4000
	v_add_co_ci_u32_e32 v16, vcc_lo, 0, v34, vcc_lo
	s_clause 0x1
	global_load_dwordx2 v[17:18], v[15:16], off offset:-2048
	global_load_dwordx2 v[15:16], v[15:16], off
	v_add_co_u32 v19, vcc_lo, v33, 0x5000
	;; [unrolled: 5-line block ×5, first 2 shown]
	v_add_co_ci_u32_e32 v32, vcc_lo, 0, v34, vcc_lo
	s_mov_b32 s1, exec_lo
	global_load_dwordx2 v[31:32], v[31:32], off
	s_waitcnt vmcnt(14)
	v_add_f64 v[3:4], |v[3:4]|, |v[5:6]|
	s_waitcnt vmcnt(13)
	v_add_f64 v[1:2], v[3:4], |v[1:2]|
	s_waitcnt vmcnt(12)
	v_add_f64 v[1:2], v[1:2], |v[9:10]|
	;; [unrolled: 2-line block ×14, first 2 shown]
	v_mov_b32_dpp v3, v1 quad_perm:[1,0,3,2] row_mask:0xf bank_mask:0xf
	v_mov_b32_dpp v4, v2 quad_perm:[1,0,3,2] row_mask:0xf bank_mask:0xf
	v_add_f64 v[1:2], v[1:2], v[3:4]
	v_mov_b32_dpp v3, v1 quad_perm:[2,3,0,1] row_mask:0xf bank_mask:0xf
	v_mov_b32_dpp v4, v2 quad_perm:[2,3,0,1] row_mask:0xf bank_mask:0xf
	v_add_f64 v[1:2], v[1:2], v[3:4]
	v_mov_b32_dpp v3, v1 row_ror:4 row_mask:0xf bank_mask:0xf
	v_mov_b32_dpp v4, v2 row_ror:4 row_mask:0xf bank_mask:0xf
	v_add_f64 v[1:2], v[1:2], v[3:4]
	v_mov_b32_dpp v3, v1 row_ror:8 row_mask:0xf bank_mask:0xf
	v_mov_b32_dpp v4, v2 row_ror:8 row_mask:0xf bank_mask:0xf
	v_add_f64 v[1:2], v[1:2], v[3:4]
	ds_swizzle_b32 v3, v1 offset:swizzle(BROADCAST,32,15)
	ds_swizzle_b32 v4, v2 offset:swizzle(BROADCAST,32,15)
	s_waitcnt lgkmcnt(0)
	v_add_f64 v[1:2], v[1:2], v[3:4]
	v_mov_b32_e32 v3, 0
	ds_bpermute_b32 v1, v3, v1 offset:124
	ds_bpermute_b32 v2, v3, v2 offset:124
	v_cmpx_eq_u32_e32 0, v35
	s_cbranch_execz .LBB14_3
; %bb.2:
	v_lshrrev_b32_e32 v3, 2, v0
	v_and_b32_e32 v3, 56, v3
	s_waitcnt lgkmcnt(0)
	ds_write_b64 v3, v[1:2]
.LBB14_3:
	s_or_b32 exec_lo, exec_lo, s1
	s_mov_b32 s1, exec_lo
	s_waitcnt lgkmcnt(0)
	s_barrier
	buffer_gl0_inv
	v_cmpx_gt_u32_e32 32, v0
	s_cbranch_execz .LBB14_5
; %bb.4:
	v_and_b32_e32 v5, 7, v35
	v_lshlrev_b32_e32 v1, 3, v5
	v_cmp_ne_u32_e32 vcc_lo, 7, v5
	ds_read_b64 v[1:2], v1
	v_add_co_ci_u32_e32 v3, vcc_lo, 0, v35, vcc_lo
	v_cmp_gt_u32_e32 vcc_lo, 6, v5
	v_lshlrev_b32_e32 v4, 2, v3
	s_waitcnt lgkmcnt(0)
	ds_bpermute_b32 v3, v4, v1
	ds_bpermute_b32 v4, v4, v2
	s_waitcnt lgkmcnt(0)
	v_add_f64 v[1:2], v[1:2], v[3:4]
	v_cndmask_b32_e64 v3, 0, 1, vcc_lo
	v_cmp_gt_u32_e32 vcc_lo, 4, v5
	v_lshlrev_b32_e32 v3, 1, v3
	v_add_lshl_u32 v4, v3, v35, 2
	ds_bpermute_b32 v3, v4, v1
	ds_bpermute_b32 v4, v4, v2
	s_waitcnt lgkmcnt(0)
	v_add_f64 v[1:2], v[1:2], v[3:4]
	v_cndmask_b32_e64 v3, 0, 1, vcc_lo
	v_lshlrev_b32_e32 v3, 2, v3
	v_add_lshl_u32 v4, v3, v35, 2
	ds_bpermute_b32 v3, v4, v1
	ds_bpermute_b32 v4, v4, v2
	s_waitcnt lgkmcnt(0)
	v_add_f64 v[1:2], v[1:2], v[3:4]
.LBB14_5:
	s_or_b32 exec_lo, exec_lo, s1
	s_branch .LBB14_60
.LBB14_6:
                                        ; implicit-def: $vgpr1_vgpr2
	s_cbranch_execz .LBB14_60
; %bb.7:
	s_sub_i32 s17, s20, s0
	s_mov_b32 s0, exec_lo
                                        ; implicit-def: $vgpr1_vgpr2_vgpr3_vgpr4_vgpr5_vgpr6_vgpr7_vgpr8_vgpr9_vgpr10_vgpr11_vgpr12_vgpr13_vgpr14_vgpr15_vgpr16_vgpr17_vgpr18_vgpr19_vgpr20_vgpr21_vgpr22_vgpr23_vgpr24_vgpr25_vgpr26_vgpr27_vgpr28_vgpr29_vgpr30_vgpr31_vgpr32
	v_cmpx_gt_u32_e64 s17, v0
	s_cbranch_execz .LBB14_9
; %bb.8:
	global_load_dwordx2 v[1:2], v[33:34], off
	s_waitcnt vmcnt(0)
	v_and_b32_e32 v2, 0x7fffffff, v2
.LBB14_9:
	s_or_b32 exec_lo, exec_lo, s0
	v_or_b32_e32 v36, 0x100, v0
	v_cmp_gt_u32_e32 vcc_lo, s17, v36
	s_and_saveexec_b32 s1, vcc_lo
	s_cbranch_execz .LBB14_11
; %bb.10:
	v_add_co_u32 v3, s0, 0x800, v33
	v_add_co_ci_u32_e64 v4, s0, 0, v34, s0
	global_load_dwordx2 v[3:4], v[3:4], off
	s_waitcnt vmcnt(0)
	v_and_b32_e32 v4, 0x7fffffff, v4
.LBB14_11:
	s_or_b32 exec_lo, exec_lo, s1
	v_or_b32_e32 v36, 0x200, v0
	v_cmp_gt_u32_e64 s0, s17, v36
	s_and_saveexec_b32 s2, s0
	s_cbranch_execz .LBB14_13
; %bb.12:
	v_add_co_u32 v5, s1, 0x1000, v33
	v_add_co_ci_u32_e64 v6, s1, 0, v34, s1
	global_load_dwordx2 v[5:6], v[5:6], off
	s_waitcnt vmcnt(0)
	v_and_b32_e32 v6, 0x7fffffff, v6
.LBB14_13:
	s_or_b32 exec_lo, exec_lo, s2
	v_or_b32_e32 v36, 0x300, v0
	v_cmp_gt_u32_e64 s1, s17, v36
	s_and_saveexec_b32 s3, s1
	;; [unrolled: 12-line block ×14, first 2 shown]
	s_cbranch_execz .LBB14_39
; %bb.38:
	v_add_co_u32 v31, s16, 0x7800, v33
	v_add_co_ci_u32_e64 v32, s16, 0, v34, s16
	global_load_dwordx2 v[31:32], v[31:32], off
	s_waitcnt vmcnt(0)
	v_and_b32_e32 v32, 0x7fffffff, v32
.LBB14_39:
	s_or_b32 exec_lo, exec_lo, s24
	v_add_f64 v[3:4], v[1:2], v[3:4]
	v_cndmask_b32_e32 v2, v2, v4, vcc_lo
	v_cndmask_b32_e32 v1, v1, v3, vcc_lo
	v_cmp_ne_u32_e32 vcc_lo, 31, v35
	v_add_f64 v[3:4], v[5:6], v[1:2]
	v_add_co_ci_u32_e32 v5, vcc_lo, 0, v35, vcc_lo
	v_add_nc_u32_e32 v6, 1, v35
	v_lshlrev_b32_e32 v5, 2, v5
	v_cndmask_b32_e64 v2, v2, v4, s0
	v_cndmask_b32_e64 v1, v1, v3, s0
	s_min_u32 s0, s17, 0x100
	v_add_f64 v[3:4], v[7:8], v[1:2]
	v_cndmask_b32_e64 v2, v2, v4, s1
	v_cndmask_b32_e64 v1, v1, v3, s1
	s_mov_b32 s1, exec_lo
	v_add_f64 v[3:4], v[9:10], v[1:2]
	v_cndmask_b32_e64 v2, v2, v4, s2
	v_cndmask_b32_e64 v1, v1, v3, s2
	v_add_f64 v[3:4], v[11:12], v[1:2]
	v_cndmask_b32_e64 v2, v2, v4, s3
	v_cndmask_b32_e64 v1, v1, v3, s3
	;; [unrolled: 3-line block ×12, first 2 shown]
	ds_bpermute_b32 v3, v5, v1
	ds_bpermute_b32 v4, v5, v2
	v_and_b32_e32 v5, 0xe0, v0
	v_sub_nc_u32_e64 v5, s0, v5 clamp
	v_cmpx_lt_u32_e64 v6, v5
	s_cbranch_execz .LBB14_41
; %bb.40:
	s_waitcnt lgkmcnt(0)
	v_add_f64 v[1:2], v[1:2], v[3:4]
.LBB14_41:
	s_or_b32 exec_lo, exec_lo, s1
	v_cmp_gt_u32_e32 vcc_lo, 30, v35
	v_add_nc_u32_e32 v6, 2, v35
	s_mov_b32 s1, exec_lo
	s_waitcnt lgkmcnt(1)
	v_cndmask_b32_e64 v3, 0, 1, vcc_lo
	v_lshlrev_b32_e32 v3, 1, v3
	s_waitcnt lgkmcnt(0)
	v_add_lshl_u32 v4, v3, v35, 2
	ds_bpermute_b32 v3, v4, v1
	ds_bpermute_b32 v4, v4, v2
	v_cmpx_lt_u32_e64 v6, v5
	s_cbranch_execz .LBB14_43
; %bb.42:
	s_waitcnt lgkmcnt(0)
	v_add_f64 v[1:2], v[1:2], v[3:4]
.LBB14_43:
	s_or_b32 exec_lo, exec_lo, s1
	v_cmp_gt_u32_e32 vcc_lo, 28, v35
	v_add_nc_u32_e32 v6, 4, v35
	s_mov_b32 s1, exec_lo
	s_waitcnt lgkmcnt(1)
	v_cndmask_b32_e64 v3, 0, 1, vcc_lo
	v_lshlrev_b32_e32 v3, 2, v3
	s_waitcnt lgkmcnt(0)
	v_add_lshl_u32 v4, v3, v35, 2
	ds_bpermute_b32 v3, v4, v1
	ds_bpermute_b32 v4, v4, v2
	;; [unrolled: 17-line block ×4, first 2 shown]
	v_cmpx_lt_u32_e64 v6, v5
	s_cbranch_execz .LBB14_49
; %bb.48:
	s_waitcnt lgkmcnt(0)
	v_add_f64 v[1:2], v[1:2], v[3:4]
.LBB14_49:
	s_or_b32 exec_lo, exec_lo, s1
	s_mov_b32 s1, exec_lo
	v_cmpx_eq_u32_e32 0, v35
	s_cbranch_execz .LBB14_51
; %bb.50:
	s_waitcnt lgkmcnt(1)
	v_lshrrev_b32_e32 v3, 2, v0
	v_and_b32_e32 v3, 56, v3
	ds_write_b64 v3, v[1:2] offset:64
.LBB14_51:
	s_or_b32 exec_lo, exec_lo, s1
	s_mov_b32 s1, exec_lo
	s_waitcnt lgkmcnt(0)
	s_barrier
	buffer_gl0_inv
	v_cmpx_gt_u32_e32 8, v0
	s_cbranch_execz .LBB14_59
; %bb.52:
	v_lshlrev_b32_e32 v1, 3, v35
	v_and_b32_e32 v5, 7, v35
	s_add_i32 s0, s0, 31
	s_mov_b32 s2, exec_lo
	s_lshr_b32 s0, s0, 5
	ds_read_b64 v[1:2], v1 offset:64
	v_cmp_ne_u32_e32 vcc_lo, 7, v5
	v_add_nc_u32_e32 v6, 1, v5
	v_add_co_ci_u32_e32 v3, vcc_lo, 0, v35, vcc_lo
	v_lshlrev_b32_e32 v4, 2, v3
	s_waitcnt lgkmcnt(0)
	ds_bpermute_b32 v3, v4, v1
	ds_bpermute_b32 v4, v4, v2
	v_cmpx_gt_u32_e64 s0, v6
	s_cbranch_execz .LBB14_54
; %bb.53:
	s_waitcnt lgkmcnt(0)
	v_add_f64 v[1:2], v[1:2], v[3:4]
.LBB14_54:
	s_or_b32 exec_lo, exec_lo, s2
	v_cmp_gt_u32_e32 vcc_lo, 6, v5
	v_add_nc_u32_e32 v6, 2, v5
	s_mov_b32 s2, exec_lo
	s_waitcnt lgkmcnt(1)
	v_cndmask_b32_e64 v3, 0, 1, vcc_lo
	v_lshlrev_b32_e32 v3, 1, v3
	s_waitcnt lgkmcnt(0)
	v_add_lshl_u32 v4, v3, v35, 2
	ds_bpermute_b32 v3, v4, v1
	ds_bpermute_b32 v4, v4, v2
	v_cmpx_gt_u32_e64 s0, v6
	s_cbranch_execz .LBB14_56
; %bb.55:
	s_waitcnt lgkmcnt(0)
	v_add_f64 v[1:2], v[1:2], v[3:4]
.LBB14_56:
	s_or_b32 exec_lo, exec_lo, s2
	v_cmp_gt_u32_e32 vcc_lo, 4, v5
	v_add_nc_u32_e32 v5, 4, v5
	s_waitcnt lgkmcnt(1)
	v_cndmask_b32_e64 v3, 0, 1, vcc_lo
	v_cmp_gt_u32_e32 vcc_lo, s0, v5
	v_lshlrev_b32_e32 v3, 2, v3
	s_waitcnt lgkmcnt(0)
	v_add_lshl_u32 v4, v3, v35, 2
	ds_bpermute_b32 v3, v4, v1
	ds_bpermute_b32 v4, v4, v2
	s_and_saveexec_b32 s0, vcc_lo
	s_cbranch_execz .LBB14_58
; %bb.57:
	s_waitcnt lgkmcnt(0)
	v_add_f64 v[1:2], v[1:2], v[3:4]
.LBB14_58:
	s_or_b32 exec_lo, exec_lo, s0
.LBB14_59:
	s_or_b32 exec_lo, exec_lo, s1
.LBB14_60:
	s_mov_b32 s0, exec_lo
	v_cmpx_eq_u32_e32 0, v0
	s_cbranch_execz .LBB14_62
; %bb.61:
	v_add_f64 v[0:1], v[1:2], s[18:19]
	s_lshl_b64 s[0:1], s[6:7], 3
	v_mov_b32_e32 v2, 0
	s_add_u32 s0, s22, s0
	s_addc_u32 s1, s23, s1
	s_cmp_eq_u64 s[20:21], 0
	s_cselect_b32 s2, -1, 0
	v_cndmask_b32_e64 v1, v1, s19, s2
	v_cndmask_b32_e64 v0, v0, s18, s2
	global_store_dwordx2 v2, v[0:1], s[0:1]
.LBB14_62:
	s_endpgm
	.section	.rodata,"a",@progbits
	.p2align	6, 0x0
	.amdhsa_kernel _ZN7rocprim6detail19block_reduce_kernelILb1ELb1ELj2ENS0_21wrapped_reduce_configINS_14default_configEdEEdN6thrust11hip_rocprim26transform_input_iterator_tIdNS5_6detail15normal_iteratorINS5_10device_ptrIdEEEEZ4mainEUldE_EEPddNS5_4plusIdEEEEvT4_mT5_T6_T7_
		.amdhsa_group_segment_fixed_size 128
		.amdhsa_private_segment_fixed_size 0
		.amdhsa_kernarg_size 44
		.amdhsa_user_sgpr_count 6
		.amdhsa_user_sgpr_private_segment_buffer 1
		.amdhsa_user_sgpr_dispatch_ptr 0
		.amdhsa_user_sgpr_queue_ptr 0
		.amdhsa_user_sgpr_kernarg_segment_ptr 1
		.amdhsa_user_sgpr_dispatch_id 0
		.amdhsa_user_sgpr_flat_scratch_init 0
		.amdhsa_user_sgpr_private_segment_size 0
		.amdhsa_wavefront_size32 1
		.amdhsa_uses_dynamic_stack 0
		.amdhsa_system_sgpr_private_segment_wavefront_offset 0
		.amdhsa_system_sgpr_workgroup_id_x 1
		.amdhsa_system_sgpr_workgroup_id_y 0
		.amdhsa_system_sgpr_workgroup_id_z 0
		.amdhsa_system_sgpr_workgroup_info 0
		.amdhsa_system_vgpr_workitem_id 0
		.amdhsa_next_free_vgpr 37
		.amdhsa_next_free_sgpr 25
		.amdhsa_reserve_vcc 1
		.amdhsa_reserve_flat_scratch 0
		.amdhsa_float_round_mode_32 0
		.amdhsa_float_round_mode_16_64 0
		.amdhsa_float_denorm_mode_32 3
		.amdhsa_float_denorm_mode_16_64 3
		.amdhsa_dx10_clamp 1
		.amdhsa_ieee_mode 1
		.amdhsa_fp16_overflow 0
		.amdhsa_workgroup_processor_mode 1
		.amdhsa_memory_ordered 1
		.amdhsa_forward_progress 0
		.amdhsa_shared_vgpr_count 0
		.amdhsa_exception_fp_ieee_invalid_op 0
		.amdhsa_exception_fp_denorm_src 0
		.amdhsa_exception_fp_ieee_div_zero 0
		.amdhsa_exception_fp_ieee_overflow 0
		.amdhsa_exception_fp_ieee_underflow 0
		.amdhsa_exception_fp_ieee_inexact 0
		.amdhsa_exception_int_div_zero 0
	.end_amdhsa_kernel
	.section	.text._ZN7rocprim6detail19block_reduce_kernelILb1ELb1ELj2ENS0_21wrapped_reduce_configINS_14default_configEdEEdN6thrust11hip_rocprim26transform_input_iterator_tIdNS5_6detail15normal_iteratorINS5_10device_ptrIdEEEEZ4mainEUldE_EEPddNS5_4plusIdEEEEvT4_mT5_T6_T7_,"axG",@progbits,_ZN7rocprim6detail19block_reduce_kernelILb1ELb1ELj2ENS0_21wrapped_reduce_configINS_14default_configEdEEdN6thrust11hip_rocprim26transform_input_iterator_tIdNS5_6detail15normal_iteratorINS5_10device_ptrIdEEEEZ4mainEUldE_EEPddNS5_4plusIdEEEEvT4_mT5_T6_T7_,comdat
.Lfunc_end14:
	.size	_ZN7rocprim6detail19block_reduce_kernelILb1ELb1ELj2ENS0_21wrapped_reduce_configINS_14default_configEdEEdN6thrust11hip_rocprim26transform_input_iterator_tIdNS5_6detail15normal_iteratorINS5_10device_ptrIdEEEEZ4mainEUldE_EEPddNS5_4plusIdEEEEvT4_mT5_T6_T7_, .Lfunc_end14-_ZN7rocprim6detail19block_reduce_kernelILb1ELb1ELj2ENS0_21wrapped_reduce_configINS_14default_configEdEEdN6thrust11hip_rocprim26transform_input_iterator_tIdNS5_6detail15normal_iteratorINS5_10device_ptrIdEEEEZ4mainEUldE_EEPddNS5_4plusIdEEEEvT4_mT5_T6_T7_
                                        ; -- End function
	.section	.AMDGPU.csdata,"",@progbits
; Kernel info:
; codeLenInByte = 3176
; NumSgprs: 27
; NumVgprs: 37
; ScratchSize: 0
; MemoryBound: 0
; FloatMode: 240
; IeeeMode: 1
; LDSByteSize: 128 bytes/workgroup (compile time only)
; SGPRBlocks: 3
; VGPRBlocks: 4
; NumSGPRsForWavesPerEU: 27
; NumVGPRsForWavesPerEU: 37
; Occupancy: 16
; WaveLimiterHint : 1
; COMPUTE_PGM_RSRC2:SCRATCH_EN: 0
; COMPUTE_PGM_RSRC2:USER_SGPR: 6
; COMPUTE_PGM_RSRC2:TRAP_HANDLER: 0
; COMPUTE_PGM_RSRC2:TGID_X_EN: 1
; COMPUTE_PGM_RSRC2:TGID_Y_EN: 0
; COMPUTE_PGM_RSRC2:TGID_Z_EN: 0
; COMPUTE_PGM_RSRC2:TIDIG_COMP_CNT: 0
	.section	.text._ZN7rocprim6detail19block_reduce_kernelILb1ELb1ELj4ENS0_21wrapped_reduce_configINS_14default_configEdEEdN6thrust11hip_rocprim26transform_input_iterator_tIdNS5_6detail15normal_iteratorINS5_10device_ptrIdEEEEZ4mainEUldE_EEPddNS5_4plusIdEEEEvT4_mT5_T6_T7_,"axG",@progbits,_ZN7rocprim6detail19block_reduce_kernelILb1ELb1ELj4ENS0_21wrapped_reduce_configINS_14default_configEdEEdN6thrust11hip_rocprim26transform_input_iterator_tIdNS5_6detail15normal_iteratorINS5_10device_ptrIdEEEEZ4mainEUldE_EEPddNS5_4plusIdEEEEvT4_mT5_T6_T7_,comdat
	.globl	_ZN7rocprim6detail19block_reduce_kernelILb1ELb1ELj4ENS0_21wrapped_reduce_configINS_14default_configEdEEdN6thrust11hip_rocprim26transform_input_iterator_tIdNS5_6detail15normal_iteratorINS5_10device_ptrIdEEEEZ4mainEUldE_EEPddNS5_4plusIdEEEEvT4_mT5_T6_T7_ ; -- Begin function _ZN7rocprim6detail19block_reduce_kernelILb1ELb1ELj4ENS0_21wrapped_reduce_configINS_14default_configEdEEdN6thrust11hip_rocprim26transform_input_iterator_tIdNS5_6detail15normal_iteratorINS5_10device_ptrIdEEEEZ4mainEUldE_EEPddNS5_4plusIdEEEEvT4_mT5_T6_T7_
	.p2align	8
	.type	_ZN7rocprim6detail19block_reduce_kernelILb1ELb1ELj4ENS0_21wrapped_reduce_configINS_14default_configEdEEdN6thrust11hip_rocprim26transform_input_iterator_tIdNS5_6detail15normal_iteratorINS5_10device_ptrIdEEEEZ4mainEUldE_EEPddNS5_4plusIdEEEEvT4_mT5_T6_T7_,@function
_ZN7rocprim6detail19block_reduce_kernelILb1ELb1ELj4ENS0_21wrapped_reduce_configINS_14default_configEdEEdN6thrust11hip_rocprim26transform_input_iterator_tIdNS5_6detail15normal_iteratorINS5_10device_ptrIdEEEEZ4mainEUldE_EEPddNS5_4plusIdEEEEvT4_mT5_T6_T7_: ; @_ZN7rocprim6detail19block_reduce_kernelILb1ELb1ELj4ENS0_21wrapped_reduce_configINS_14default_configEdEEdN6thrust11hip_rocprim26transform_input_iterator_tIdNS5_6detail15normal_iteratorINS5_10device_ptrIdEEEEZ4mainEUldE_EEPddNS5_4plusIdEEEEvT4_mT5_T6_T7_
; %bb.0:
	s_clause 0x2
	s_load_dwordx4 s[36:39], s[4:5], 0x10
	s_load_dwordx2 s[2:3], s[4:5], 0x0
	s_load_dwordx2 s[34:35], s[4:5], 0x20
	s_mov_b32 s1, 0
	s_lshl_b32 s0, s6, 13
	v_lshlrev_b32_e32 v1, 3, v0
	s_lshl_b64 s[4:5], s[0:1], 3
	s_mov_b32 s7, s1
	v_mbcnt_lo_u32_b32 v67, -1, 0
	s_waitcnt lgkmcnt(0)
	s_lshr_b64 s[8:9], s[36:37], 13
	s_add_u32 s1, s2, s4
	s_addc_u32 s2, s3, s5
	v_add_co_u32 v1, s1, s1, v1
	v_add_co_ci_u32_e64 v2, null, s2, 0, s1
	s_cmp_lg_u64 s[8:9], s[6:7]
	s_cbranch_scc0 .LBB15_6
; %bb.1:
	v_add_co_u32 v3, vcc_lo, v1, 0x1000
	v_add_co_ci_u32_e32 v4, vcc_lo, 0, v2, vcc_lo
	v_add_co_u32 v9, vcc_lo, v1, 0x2000
	s_clause 0x2
	global_load_dwordx2 v[5:6], v[1:2], off
	global_load_dwordx2 v[7:8], v[3:4], off offset:-2048
	global_load_dwordx2 v[3:4], v[3:4], off
	v_add_co_ci_u32_e32 v10, vcc_lo, 0, v2, vcc_lo
	v_add_co_u32 v13, vcc_lo, v1, 0x3000
	s_clause 0x1
	global_load_dwordx2 v[11:12], v[9:10], off offset:-2048
	global_load_dwordx2 v[9:10], v[9:10], off
	v_add_co_ci_u32_e32 v14, vcc_lo, 0, v2, vcc_lo
	s_clause 0x1
	global_load_dwordx2 v[15:16], v[13:14], off offset:-2048
	global_load_dwordx2 v[13:14], v[13:14], off
	v_add_co_u32 v17, vcc_lo, v1, 0x4000
	v_add_co_ci_u32_e32 v18, vcc_lo, 0, v2, vcc_lo
	s_clause 0x1
	global_load_dwordx2 v[19:20], v[17:18], off offset:-2048
	global_load_dwordx2 v[17:18], v[17:18], off
	v_add_co_u32 v21, vcc_lo, v1, 0x5000
	v_add_co_ci_u32_e32 v22, vcc_lo, 0, v2, vcc_lo
	s_clause 0x1
	global_load_dwordx2 v[23:24], v[21:22], off offset:-2048
	global_load_dwordx2 v[21:22], v[21:22], off
	v_add_co_u32 v25, vcc_lo, v1, 0x6000
	v_add_co_ci_u32_e32 v26, vcc_lo, 0, v2, vcc_lo
	s_clause 0x1
	global_load_dwordx2 v[27:28], v[25:26], off offset:-2048
	global_load_dwordx2 v[25:26], v[25:26], off
	v_add_co_u32 v29, vcc_lo, v1, 0x7000
	v_add_co_ci_u32_e32 v30, vcc_lo, 0, v2, vcc_lo
	s_clause 0x1
	global_load_dwordx2 v[31:32], v[29:30], off offset:-2048
	global_load_dwordx2 v[29:30], v[29:30], off
	v_add_co_u32 v33, vcc_lo, v1, 0x8000
	v_add_co_ci_u32_e32 v34, vcc_lo, 0, v2, vcc_lo
	v_add_co_u32 v37, vcc_lo, 0xf800, v1
	v_add_co_ci_u32_e32 v38, vcc_lo, 0, v2, vcc_lo
	global_load_dwordx2 v[35:36], v[33:34], off offset:-2048
	s_mov_b32 s1, exec_lo
	global_load_dwordx2 v[37:38], v[37:38], off
	s_waitcnt vmcnt(15)
	v_add_f64 v[5:6], |v[5:6]|, |v[7:8]|
	global_load_dwordx2 v[7:8], v[33:34], off
	s_waitcnt vmcnt(15)
	v_add_f64 v[3:4], v[5:6], |v[3:4]|
	v_add_co_u32 v5, vcc_lo, v1, 0x9000
	v_add_co_ci_u32_e32 v6, vcc_lo, 0, v2, vcc_lo
	s_waitcnt vmcnt(14)
	v_add_f64 v[3:4], v[3:4], |v[11:12]|
	s_waitcnt vmcnt(13)
	v_add_f64 v[3:4], v[3:4], |v[9:10]|
	v_add_co_u32 v9, vcc_lo, v1, 0xa000
	v_add_co_ci_u32_e32 v10, vcc_lo, 0, v2, vcc_lo
	global_load_dwordx2 v[11:12], v[9:10], off offset:-2048
	s_waitcnt vmcnt(13)
	v_add_f64 v[3:4], v[3:4], |v[15:16]|
	s_waitcnt vmcnt(12)
	v_add_f64 v[3:4], v[3:4], |v[13:14]|
	v_add_co_u32 v13, vcc_lo, v1, 0xb000
	v_add_co_ci_u32_e32 v14, vcc_lo, 0, v2, vcc_lo
	global_load_dwordx2 v[15:16], v[13:14], off offset:-2048
	s_waitcnt vmcnt(12)
	v_add_f64 v[3:4], v[3:4], |v[19:20]|
	s_waitcnt vmcnt(11)
	v_add_f64 v[3:4], v[3:4], |v[17:18]|
	v_add_co_u32 v17, vcc_lo, v1, 0xc000
	v_add_co_ci_u32_e32 v18, vcc_lo, 0, v2, vcc_lo
	s_clause 0x3
	global_load_dwordx2 v[19:20], v[17:18], off offset:-2048
	global_load_dwordx2 v[9:10], v[9:10], off
	global_load_dwordx2 v[13:14], v[13:14], off
	;; [unrolled: 1-line block ×3, first 2 shown]
	s_waitcnt vmcnt(14)
	v_add_f64 v[3:4], v[3:4], |v[23:24]|
	s_waitcnt vmcnt(13)
	v_add_f64 v[3:4], v[3:4], |v[21:22]|
	v_add_co_u32 v21, vcc_lo, v1, 0xd000
	v_add_co_ci_u32_e32 v22, vcc_lo, 0, v2, vcc_lo
	global_load_dwordx2 v[23:24], v[21:22], off offset:-2048
	s_waitcnt vmcnt(13)
	v_add_f64 v[3:4], v[3:4], |v[27:28]|
	s_waitcnt vmcnt(12)
	v_add_f64 v[3:4], v[3:4], |v[25:26]|
	v_add_co_u32 v25, vcc_lo, v1, 0xe000
	v_add_co_ci_u32_e32 v26, vcc_lo, 0, v2, vcc_lo
	global_load_dwordx2 v[27:28], v[25:26], off offset:-2048
	s_waitcnt vmcnt(12)
	v_add_f64 v[3:4], v[3:4], |v[31:32]|
	s_waitcnt vmcnt(11)
	v_add_f64 v[3:4], v[3:4], |v[29:30]|
	v_add_co_u32 v29, vcc_lo, v1, 0xf000
	v_add_co_ci_u32_e32 v30, vcc_lo, 0, v2, vcc_lo
	s_clause 0x5
	global_load_dwordx2 v[31:32], v[29:30], off offset:-2048
	global_load_dwordx2 v[21:22], v[21:22], off
	global_load_dwordx2 v[25:26], v[25:26], off
	global_load_dwordx2 v[29:30], v[29:30], off
	global_load_dwordx2 v[33:34], v[5:6], off offset:-2048
	global_load_dwordx2 v[5:6], v[5:6], off
	s_waitcnt vmcnt(16)
	v_add_f64 v[3:4], v[3:4], |v[35:36]|
	s_waitcnt vmcnt(14)
	v_add_f64 v[3:4], v[3:4], |v[7:8]|
	;; [unrolled: 2-line block ×4, first 2 shown]
	v_add_f64 v[3:4], v[3:4], |v[11:12]|
	v_add_f64 v[3:4], v[3:4], |v[9:10]|
	;; [unrolled: 1-line block ×13, first 2 shown]
	v_mov_b32_dpp v5, v3 quad_perm:[1,0,3,2] row_mask:0xf bank_mask:0xf
	v_mov_b32_dpp v6, v4 quad_perm:[1,0,3,2] row_mask:0xf bank_mask:0xf
	v_add_f64 v[3:4], v[3:4], v[5:6]
	v_mov_b32_dpp v5, v3 quad_perm:[2,3,0,1] row_mask:0xf bank_mask:0xf
	v_mov_b32_dpp v6, v4 quad_perm:[2,3,0,1] row_mask:0xf bank_mask:0xf
	v_add_f64 v[3:4], v[3:4], v[5:6]
	v_mov_b32_dpp v5, v3 row_ror:4 row_mask:0xf bank_mask:0xf
	v_mov_b32_dpp v6, v4 row_ror:4 row_mask:0xf bank_mask:0xf
	v_add_f64 v[3:4], v[3:4], v[5:6]
	v_mov_b32_dpp v5, v3 row_ror:8 row_mask:0xf bank_mask:0xf
	v_mov_b32_dpp v6, v4 row_ror:8 row_mask:0xf bank_mask:0xf
	v_add_f64 v[3:4], v[3:4], v[5:6]
	ds_swizzle_b32 v5, v3 offset:swizzle(BROADCAST,32,15)
	ds_swizzle_b32 v6, v4 offset:swizzle(BROADCAST,32,15)
	s_waitcnt lgkmcnt(0)
	v_add_f64 v[3:4], v[3:4], v[5:6]
	v_mov_b32_e32 v5, 0
	ds_bpermute_b32 v3, v5, v3 offset:124
	ds_bpermute_b32 v4, v5, v4 offset:124
	v_cmpx_eq_u32_e32 0, v67
	s_cbranch_execz .LBB15_3
; %bb.2:
	v_lshrrev_b32_e32 v5, 2, v0
	v_and_b32_e32 v5, 56, v5
	s_waitcnt lgkmcnt(0)
	ds_write_b64 v5, v[3:4]
.LBB15_3:
	s_or_b32 exec_lo, exec_lo, s1
	s_mov_b32 s1, exec_lo
	s_waitcnt lgkmcnt(0)
	s_barrier
	buffer_gl0_inv
	v_cmpx_gt_u32_e32 32, v0
	s_cbranch_execz .LBB15_5
; %bb.4:
	v_and_b32_e32 v7, 7, v67
	v_lshlrev_b32_e32 v3, 3, v7
	v_cmp_ne_u32_e32 vcc_lo, 7, v7
	ds_read_b64 v[3:4], v3
	v_add_co_ci_u32_e32 v5, vcc_lo, 0, v67, vcc_lo
	v_cmp_gt_u32_e32 vcc_lo, 6, v7
	v_lshlrev_b32_e32 v6, 2, v5
	s_waitcnt lgkmcnt(0)
	ds_bpermute_b32 v5, v6, v3
	ds_bpermute_b32 v6, v6, v4
	s_waitcnt lgkmcnt(0)
	v_add_f64 v[3:4], v[3:4], v[5:6]
	v_cndmask_b32_e64 v5, 0, 1, vcc_lo
	v_cmp_gt_u32_e32 vcc_lo, 4, v7
	v_lshlrev_b32_e32 v5, 1, v5
	v_add_lshl_u32 v6, v5, v67, 2
	ds_bpermute_b32 v5, v6, v3
	ds_bpermute_b32 v6, v6, v4
	s_waitcnt lgkmcnt(0)
	v_add_f64 v[3:4], v[3:4], v[5:6]
	v_cndmask_b32_e64 v5, 0, 1, vcc_lo
	v_lshlrev_b32_e32 v5, 2, v5
	v_add_lshl_u32 v6, v5, v67, 2
	ds_bpermute_b32 v5, v6, v3
	ds_bpermute_b32 v6, v6, v4
	s_waitcnt lgkmcnt(0)
	v_add_f64 v[3:4], v[3:4], v[5:6]
.LBB15_5:
	s_or_b32 exec_lo, exec_lo, s1
	s_branch .LBB15_92
.LBB15_6:
                                        ; implicit-def: $vgpr3_vgpr4
	s_cbranch_execz .LBB15_92
; %bb.7:
	s_sub_i32 s40, s36, s0
	s_mov_b32 s0, exec_lo
                                        ; implicit-def: $vgpr3_vgpr4
	v_cmpx_gt_u32_e64 s40, v0
	s_cbranch_execz .LBB15_9
; %bb.8:
	global_load_dwordx2 v[3:4], v[1:2], off
	s_waitcnt vmcnt(0)
	v_and_b32_e32 v4, 0x7fffffff, v4
.LBB15_9:
	s_or_b32 exec_lo, exec_lo, s0
	v_or_b32_e32 v5, 0x100, v0
	v_cmp_gt_u32_e32 vcc_lo, s40, v5
                                        ; implicit-def: $vgpr5_vgpr6
	s_and_saveexec_b32 s1, vcc_lo
	s_cbranch_execz .LBB15_11
; %bb.10:
	v_add_co_u32 v5, s0, 0x800, v1
	v_add_co_ci_u32_e64 v6, s0, 0, v2, s0
	global_load_dwordx2 v[5:6], v[5:6], off
	s_waitcnt vmcnt(0)
	v_and_b32_e32 v6, 0x7fffffff, v6
.LBB15_11:
	s_or_b32 exec_lo, exec_lo, s1
	v_or_b32_e32 v7, 0x200, v0
	v_cmp_gt_u32_e64 s0, s40, v7
                                        ; implicit-def: $vgpr7_vgpr8
	s_and_saveexec_b32 s2, s0
	s_cbranch_execz .LBB15_13
; %bb.12:
	v_add_co_u32 v7, s1, 0x1000, v1
	v_add_co_ci_u32_e64 v8, s1, 0, v2, s1
	global_load_dwordx2 v[7:8], v[7:8], off
	s_waitcnt vmcnt(0)
	v_and_b32_e32 v8, 0x7fffffff, v8
.LBB15_13:
	s_or_b32 exec_lo, exec_lo, s2
	v_or_b32_e32 v9, 0x300, v0
	v_cmp_gt_u32_e64 s1, s40, v9
                                        ; implicit-def: $vgpr9_vgpr10
	s_and_saveexec_b32 s3, s1
	s_cbranch_execz .LBB15_15
; %bb.14:
	v_add_co_u32 v9, s2, 0x1800, v1
	v_add_co_ci_u32_e64 v10, s2, 0, v2, s2
	global_load_dwordx2 v[9:10], v[9:10], off
	s_waitcnt vmcnt(0)
	v_and_b32_e32 v10, 0x7fffffff, v10
.LBB15_15:
	s_or_b32 exec_lo, exec_lo, s3
	v_or_b32_e32 v11, 0x400, v0
	v_cmp_gt_u32_e64 s2, s40, v11
                                        ; implicit-def: $vgpr11_vgpr12
	s_and_saveexec_b32 s4, s2
	s_cbranch_execz .LBB15_17
; %bb.16:
	v_add_co_u32 v11, s3, 0x2000, v1
	v_add_co_ci_u32_e64 v12, s3, 0, v2, s3
	global_load_dwordx2 v[11:12], v[11:12], off
	s_waitcnt vmcnt(0)
	v_and_b32_e32 v12, 0x7fffffff, v12
.LBB15_17:
	s_or_b32 exec_lo, exec_lo, s4
	v_or_b32_e32 v13, 0x500, v0
	v_cmp_gt_u32_e64 s3, s40, v13
                                        ; implicit-def: $vgpr13_vgpr14
	s_and_saveexec_b32 s5, s3
	s_cbranch_execz .LBB15_19
; %bb.18:
	v_add_co_u32 v13, s4, 0x2800, v1
	v_add_co_ci_u32_e64 v14, s4, 0, v2, s4
	global_load_dwordx2 v[13:14], v[13:14], off
	s_waitcnt vmcnt(0)
	v_and_b32_e32 v14, 0x7fffffff, v14
.LBB15_19:
	s_or_b32 exec_lo, exec_lo, s5
	v_or_b32_e32 v15, 0x600, v0
	v_cmp_gt_u32_e64 s4, s40, v15
                                        ; implicit-def: $vgpr15_vgpr16
	s_and_saveexec_b32 s8, s4
	s_cbranch_execz .LBB15_21
; %bb.20:
	v_add_co_u32 v15, s5, 0x3000, v1
	v_add_co_ci_u32_e64 v16, s5, 0, v2, s5
	global_load_dwordx2 v[15:16], v[15:16], off
	s_waitcnt vmcnt(0)
	v_and_b32_e32 v16, 0x7fffffff, v16
.LBB15_21:
	s_or_b32 exec_lo, exec_lo, s8
	v_or_b32_e32 v17, 0x700, v0
	v_cmp_gt_u32_e64 s5, s40, v17
                                        ; implicit-def: $vgpr17_vgpr18
	s_and_saveexec_b32 s9, s5
	s_cbranch_execz .LBB15_23
; %bb.22:
	v_add_co_u32 v17, s8, 0x3800, v1
	v_add_co_ci_u32_e64 v18, s8, 0, v2, s8
	global_load_dwordx2 v[17:18], v[17:18], off
	s_waitcnt vmcnt(0)
	v_and_b32_e32 v18, 0x7fffffff, v18
.LBB15_23:
	s_or_b32 exec_lo, exec_lo, s9
	v_or_b32_e32 v19, 0x800, v0
	v_cmp_gt_u32_e64 s8, s40, v19
                                        ; implicit-def: $vgpr19_vgpr20
	s_and_saveexec_b32 s10, s8
	s_cbranch_execz .LBB15_25
; %bb.24:
	v_add_co_u32 v19, s9, 0x4000, v1
	v_add_co_ci_u32_e64 v20, s9, 0, v2, s9
	global_load_dwordx2 v[19:20], v[19:20], off
	s_waitcnt vmcnt(0)
	v_and_b32_e32 v20, 0x7fffffff, v20
.LBB15_25:
	s_or_b32 exec_lo, exec_lo, s10
	v_or_b32_e32 v21, 0x900, v0
	v_cmp_gt_u32_e64 s9, s40, v21
                                        ; implicit-def: $vgpr21_vgpr22
	s_and_saveexec_b32 s11, s9
	s_cbranch_execz .LBB15_27
; %bb.26:
	v_add_co_u32 v21, s10, 0x4800, v1
	v_add_co_ci_u32_e64 v22, s10, 0, v2, s10
	global_load_dwordx2 v[21:22], v[21:22], off
	s_waitcnt vmcnt(0)
	v_and_b32_e32 v22, 0x7fffffff, v22
.LBB15_27:
	s_or_b32 exec_lo, exec_lo, s11
	v_or_b32_e32 v23, 0xa00, v0
	v_cmp_gt_u32_e64 s10, s40, v23
                                        ; implicit-def: $vgpr23_vgpr24
	s_and_saveexec_b32 s12, s10
	s_cbranch_execz .LBB15_29
; %bb.28:
	v_add_co_u32 v23, s11, 0x5000, v1
	v_add_co_ci_u32_e64 v24, s11, 0, v2, s11
	global_load_dwordx2 v[23:24], v[23:24], off
	s_waitcnt vmcnt(0)
	v_and_b32_e32 v24, 0x7fffffff, v24
.LBB15_29:
	s_or_b32 exec_lo, exec_lo, s12
	v_or_b32_e32 v25, 0xb00, v0
	v_cmp_gt_u32_e64 s11, s40, v25
                                        ; implicit-def: $vgpr25_vgpr26
	s_and_saveexec_b32 s13, s11
	s_cbranch_execz .LBB15_31
; %bb.30:
	v_add_co_u32 v25, s12, 0x5800, v1
	v_add_co_ci_u32_e64 v26, s12, 0, v2, s12
	global_load_dwordx2 v[25:26], v[25:26], off
	s_waitcnt vmcnt(0)
	v_and_b32_e32 v26, 0x7fffffff, v26
.LBB15_31:
	s_or_b32 exec_lo, exec_lo, s13
	v_or_b32_e32 v27, 0xc00, v0
	v_cmp_gt_u32_e64 s12, s40, v27
                                        ; implicit-def: $vgpr27_vgpr28
	s_and_saveexec_b32 s14, s12
	s_cbranch_execz .LBB15_33
; %bb.32:
	v_add_co_u32 v27, s13, 0x6000, v1
	v_add_co_ci_u32_e64 v28, s13, 0, v2, s13
	global_load_dwordx2 v[27:28], v[27:28], off
	s_waitcnt vmcnt(0)
	v_and_b32_e32 v28, 0x7fffffff, v28
.LBB15_33:
	s_or_b32 exec_lo, exec_lo, s14
	v_or_b32_e32 v29, 0xd00, v0
	v_cmp_gt_u32_e64 s13, s40, v29
                                        ; implicit-def: $vgpr29_vgpr30
	s_and_saveexec_b32 s15, s13
	s_cbranch_execz .LBB15_35
; %bb.34:
	v_add_co_u32 v29, s14, 0x6800, v1
	v_add_co_ci_u32_e64 v30, s14, 0, v2, s14
	global_load_dwordx2 v[29:30], v[29:30], off
	s_waitcnt vmcnt(0)
	v_and_b32_e32 v30, 0x7fffffff, v30
.LBB15_35:
	s_or_b32 exec_lo, exec_lo, s15
	v_or_b32_e32 v31, 0xe00, v0
	v_cmp_gt_u32_e64 s14, s40, v31
                                        ; implicit-def: $vgpr31_vgpr32
	s_and_saveexec_b32 s16, s14
	s_cbranch_execz .LBB15_37
; %bb.36:
	v_add_co_u32 v31, s15, 0x7000, v1
	v_add_co_ci_u32_e64 v32, s15, 0, v2, s15
	global_load_dwordx2 v[31:32], v[31:32], off
	s_waitcnt vmcnt(0)
	v_and_b32_e32 v32, 0x7fffffff, v32
.LBB15_37:
	s_or_b32 exec_lo, exec_lo, s16
	v_or_b32_e32 v33, 0xf00, v0
	v_cmp_gt_u32_e64 s15, s40, v33
                                        ; implicit-def: $vgpr33_vgpr34
	s_and_saveexec_b32 s17, s15
	s_cbranch_execz .LBB15_39
; %bb.38:
	v_add_co_u32 v33, s16, 0x7800, v1
	v_add_co_ci_u32_e64 v34, s16, 0, v2, s16
	global_load_dwordx2 v[33:34], v[33:34], off
	s_waitcnt vmcnt(0)
	v_and_b32_e32 v34, 0x7fffffff, v34
.LBB15_39:
	s_or_b32 exec_lo, exec_lo, s17
	v_or_b32_e32 v35, 0x1000, v0
	v_cmp_gt_u32_e64 s16, s40, v35
                                        ; implicit-def: $vgpr35_vgpr36
	s_and_saveexec_b32 s18, s16
	s_cbranch_execz .LBB15_41
; %bb.40:
	v_add_co_u32 v35, s17, 0x8000, v1
	v_add_co_ci_u32_e64 v36, s17, 0, v2, s17
	global_load_dwordx2 v[35:36], v[35:36], off
	s_waitcnt vmcnt(0)
	v_and_b32_e32 v36, 0x7fffffff, v36
.LBB15_41:
	s_or_b32 exec_lo, exec_lo, s18
	v_or_b32_e32 v37, 0x1100, v0
	v_cmp_gt_u32_e64 s17, s40, v37
                                        ; implicit-def: $vgpr37_vgpr38
	s_and_saveexec_b32 s19, s17
	s_cbranch_execz .LBB15_43
; %bb.42:
	v_add_co_u32 v37, s18, 0x8800, v1
	v_add_co_ci_u32_e64 v38, s18, 0, v2, s18
	global_load_dwordx2 v[37:38], v[37:38], off
	s_waitcnt vmcnt(0)
	v_and_b32_e32 v38, 0x7fffffff, v38
.LBB15_43:
	s_or_b32 exec_lo, exec_lo, s19
	v_or_b32_e32 v39, 0x1200, v0
	v_cmp_gt_u32_e64 s18, s40, v39
                                        ; implicit-def: $vgpr39_vgpr40
	s_and_saveexec_b32 s20, s18
	s_cbranch_execz .LBB15_45
; %bb.44:
	v_add_co_u32 v39, s19, 0x9000, v1
	v_add_co_ci_u32_e64 v40, s19, 0, v2, s19
	global_load_dwordx2 v[39:40], v[39:40], off
	s_waitcnt vmcnt(0)
	v_and_b32_e32 v40, 0x7fffffff, v40
.LBB15_45:
	s_or_b32 exec_lo, exec_lo, s20
	v_or_b32_e32 v41, 0x1300, v0
	v_cmp_gt_u32_e64 s19, s40, v41
                                        ; implicit-def: $vgpr41_vgpr42
	s_and_saveexec_b32 s21, s19
	s_cbranch_execz .LBB15_47
; %bb.46:
	v_add_co_u32 v41, s20, 0x9800, v1
	v_add_co_ci_u32_e64 v42, s20, 0, v2, s20
	global_load_dwordx2 v[41:42], v[41:42], off
	s_waitcnt vmcnt(0)
	v_and_b32_e32 v42, 0x7fffffff, v42
.LBB15_47:
	s_or_b32 exec_lo, exec_lo, s21
	v_or_b32_e32 v43, 0x1400, v0
	v_cmp_gt_u32_e64 s20, s40, v43
                                        ; implicit-def: $vgpr43_vgpr44
	s_and_saveexec_b32 s22, s20
	s_cbranch_execz .LBB15_49
; %bb.48:
	v_add_co_u32 v43, s21, 0xa000, v1
	v_add_co_ci_u32_e64 v44, s21, 0, v2, s21
	global_load_dwordx2 v[43:44], v[43:44], off
	s_waitcnt vmcnt(0)
	v_and_b32_e32 v44, 0x7fffffff, v44
.LBB15_49:
	s_or_b32 exec_lo, exec_lo, s22
	v_or_b32_e32 v45, 0x1500, v0
	v_cmp_gt_u32_e64 s21, s40, v45
                                        ; implicit-def: $vgpr45_vgpr46
	s_and_saveexec_b32 s23, s21
	s_cbranch_execz .LBB15_51
; %bb.50:
	v_add_co_u32 v45, s22, 0xa800, v1
	v_add_co_ci_u32_e64 v46, s22, 0, v2, s22
	global_load_dwordx2 v[45:46], v[45:46], off
	s_waitcnt vmcnt(0)
	v_and_b32_e32 v46, 0x7fffffff, v46
.LBB15_51:
	s_or_b32 exec_lo, exec_lo, s23
	v_or_b32_e32 v47, 0x1600, v0
	v_cmp_gt_u32_e64 s22, s40, v47
                                        ; implicit-def: $vgpr47_vgpr48
	s_and_saveexec_b32 s24, s22
	s_cbranch_execz .LBB15_53
; %bb.52:
	v_add_co_u32 v47, s23, 0xb000, v1
	v_add_co_ci_u32_e64 v48, s23, 0, v2, s23
	global_load_dwordx2 v[47:48], v[47:48], off
	s_waitcnt vmcnt(0)
	v_and_b32_e32 v48, 0x7fffffff, v48
.LBB15_53:
	s_or_b32 exec_lo, exec_lo, s24
	v_or_b32_e32 v49, 0x1700, v0
	v_cmp_gt_u32_e64 s23, s40, v49
                                        ; implicit-def: $vgpr49_vgpr50
	s_and_saveexec_b32 s25, s23
	s_cbranch_execz .LBB15_55
; %bb.54:
	v_add_co_u32 v49, s24, 0xb800, v1
	v_add_co_ci_u32_e64 v50, s24, 0, v2, s24
	global_load_dwordx2 v[49:50], v[49:50], off
	s_waitcnt vmcnt(0)
	v_and_b32_e32 v50, 0x7fffffff, v50
.LBB15_55:
	s_or_b32 exec_lo, exec_lo, s25
	v_or_b32_e32 v51, 0x1800, v0
	v_cmp_gt_u32_e64 s24, s40, v51
                                        ; implicit-def: $vgpr51_vgpr52
	s_and_saveexec_b32 s26, s24
	s_cbranch_execz .LBB15_57
; %bb.56:
	v_add_co_u32 v51, s25, 0xc000, v1
	v_add_co_ci_u32_e64 v52, s25, 0, v2, s25
	global_load_dwordx2 v[51:52], v[51:52], off
	s_waitcnt vmcnt(0)
	v_and_b32_e32 v52, 0x7fffffff, v52
.LBB15_57:
	s_or_b32 exec_lo, exec_lo, s26
	v_or_b32_e32 v53, 0x1900, v0
	v_cmp_gt_u32_e64 s25, s40, v53
                                        ; implicit-def: $vgpr53_vgpr54
	s_and_saveexec_b32 s27, s25
	s_cbranch_execz .LBB15_59
; %bb.58:
	v_add_co_u32 v53, s26, 0xc800, v1
	v_add_co_ci_u32_e64 v54, s26, 0, v2, s26
	global_load_dwordx2 v[53:54], v[53:54], off
	s_waitcnt vmcnt(0)
	v_and_b32_e32 v54, 0x7fffffff, v54
.LBB15_59:
	s_or_b32 exec_lo, exec_lo, s27
	v_or_b32_e32 v55, 0x1a00, v0
	v_cmp_gt_u32_e64 s26, s40, v55
                                        ; implicit-def: $vgpr55_vgpr56
	s_and_saveexec_b32 s28, s26
	s_cbranch_execz .LBB15_61
; %bb.60:
	v_add_co_u32 v55, s27, 0xd000, v1
	v_add_co_ci_u32_e64 v56, s27, 0, v2, s27
	global_load_dwordx2 v[55:56], v[55:56], off
	s_waitcnt vmcnt(0)
	v_and_b32_e32 v56, 0x7fffffff, v56
.LBB15_61:
	s_or_b32 exec_lo, exec_lo, s28
	v_or_b32_e32 v57, 0x1b00, v0
	v_cmp_gt_u32_e64 s27, s40, v57
                                        ; implicit-def: $vgpr57_vgpr58
	s_and_saveexec_b32 s29, s27
	s_cbranch_execz .LBB15_63
; %bb.62:
	v_add_co_u32 v57, s28, 0xd800, v1
	v_add_co_ci_u32_e64 v58, s28, 0, v2, s28
	global_load_dwordx2 v[57:58], v[57:58], off
	s_waitcnt vmcnt(0)
	v_and_b32_e32 v58, 0x7fffffff, v58
.LBB15_63:
	s_or_b32 exec_lo, exec_lo, s29
	v_or_b32_e32 v59, 0x1c00, v0
	v_cmp_gt_u32_e64 s28, s40, v59
                                        ; implicit-def: $vgpr59_vgpr60
	s_and_saveexec_b32 s30, s28
	s_cbranch_execz .LBB15_65
; %bb.64:
	v_add_co_u32 v59, s29, 0xe000, v1
	v_add_co_ci_u32_e64 v60, s29, 0, v2, s29
	global_load_dwordx2 v[59:60], v[59:60], off
	s_waitcnt vmcnt(0)
	v_and_b32_e32 v60, 0x7fffffff, v60
.LBB15_65:
	s_or_b32 exec_lo, exec_lo, s30
	v_or_b32_e32 v61, 0x1d00, v0
	v_cmp_gt_u32_e64 s29, s40, v61
                                        ; implicit-def: $vgpr61_vgpr62
	s_and_saveexec_b32 s31, s29
	s_cbranch_execz .LBB15_67
; %bb.66:
	v_add_co_u32 v61, s30, 0xe800, v1
	v_add_co_ci_u32_e64 v62, s30, 0, v2, s30
	global_load_dwordx2 v[61:62], v[61:62], off
	s_waitcnt vmcnt(0)
	v_and_b32_e32 v62, 0x7fffffff, v62
.LBB15_67:
	s_or_b32 exec_lo, exec_lo, s31
	v_or_b32_e32 v63, 0x1e00, v0
	v_cmp_gt_u32_e64 s30, s40, v63
                                        ; implicit-def: $vgpr63_vgpr64
	s_and_saveexec_b32 s33, s30
	s_cbranch_execz .LBB15_69
; %bb.68:
	v_add_co_u32 v63, s31, 0xf000, v1
	v_add_co_ci_u32_e64 v64, s31, 0, v2, s31
	global_load_dwordx2 v[63:64], v[63:64], off
	s_waitcnt vmcnt(0)
	v_and_b32_e32 v64, 0x7fffffff, v64
.LBB15_69:
	s_or_b32 exec_lo, exec_lo, s33
	v_or_b32_e32 v65, 0x1f00, v0
	v_cmp_gt_u32_e64 s31, s40, v65
                                        ; implicit-def: $vgpr65_vgpr66
	s_and_saveexec_b32 s41, s31
	s_cbranch_execz .LBB15_71
; %bb.70:
	v_add_co_u32 v1, s33, 0xf800, v1
	v_add_co_ci_u32_e64 v2, s33, 0, v2, s33
	global_load_dwordx2 v[65:66], v[1:2], off
	s_waitcnt vmcnt(0)
	v_and_b32_e32 v66, 0x7fffffff, v66
.LBB15_71:
	s_or_b32 exec_lo, exec_lo, s41
	v_add_f64 v[1:2], v[3:4], v[5:6]
	v_add_nc_u32_e32 v6, 1, v67
	v_cndmask_b32_e32 v2, v4, v2, vcc_lo
	v_cndmask_b32_e32 v1, v3, v1, vcc_lo
	v_cmp_ne_u32_e32 vcc_lo, 31, v67
	v_add_f64 v[3:4], v[1:2], v[7:8]
	v_add_co_ci_u32_e32 v5, vcc_lo, 0, v67, vcc_lo
	v_lshlrev_b32_e32 v5, 2, v5
	v_cndmask_b32_e64 v2, v2, v4, s0
	v_cndmask_b32_e64 v1, v1, v3, s0
	s_min_u32 s0, s40, 0x100
	v_add_f64 v[3:4], v[1:2], v[9:10]
	v_cndmask_b32_e64 v2, v2, v4, s1
	v_cndmask_b32_e64 v1, v1, v3, s1
	s_mov_b32 s1, exec_lo
	v_add_f64 v[3:4], v[1:2], v[11:12]
	v_cndmask_b32_e64 v2, v2, v4, s2
	v_cndmask_b32_e64 v1, v1, v3, s2
	v_add_f64 v[3:4], v[1:2], v[13:14]
	v_cndmask_b32_e64 v2, v2, v4, s3
	v_cndmask_b32_e64 v1, v1, v3, s3
	;; [unrolled: 3-line block ×28, first 2 shown]
	ds_bpermute_b32 v1, v5, v3
	ds_bpermute_b32 v2, v5, v4
	v_and_b32_e32 v5, 0xe0, v0
	v_sub_nc_u32_e64 v5, s0, v5 clamp
	v_cmpx_lt_u32_e64 v6, v5
	s_cbranch_execz .LBB15_73
; %bb.72:
	s_waitcnt lgkmcnt(0)
	v_add_f64 v[3:4], v[3:4], v[1:2]
.LBB15_73:
	s_or_b32 exec_lo, exec_lo, s1
	v_cmp_gt_u32_e32 vcc_lo, 30, v67
	v_add_nc_u32_e32 v6, 2, v67
	s_mov_b32 s1, exec_lo
	s_waitcnt lgkmcnt(1)
	v_cndmask_b32_e64 v1, 0, 1, vcc_lo
	v_lshlrev_b32_e32 v1, 1, v1
	s_waitcnt lgkmcnt(0)
	v_add_lshl_u32 v2, v1, v67, 2
	ds_bpermute_b32 v1, v2, v3
	ds_bpermute_b32 v2, v2, v4
	v_cmpx_lt_u32_e64 v6, v5
	s_cbranch_execz .LBB15_75
; %bb.74:
	s_waitcnt lgkmcnt(0)
	v_add_f64 v[3:4], v[3:4], v[1:2]
.LBB15_75:
	s_or_b32 exec_lo, exec_lo, s1
	v_cmp_gt_u32_e32 vcc_lo, 28, v67
	v_add_nc_u32_e32 v6, 4, v67
	s_mov_b32 s1, exec_lo
	s_waitcnt lgkmcnt(1)
	v_cndmask_b32_e64 v1, 0, 1, vcc_lo
	v_lshlrev_b32_e32 v1, 2, v1
	s_waitcnt lgkmcnt(0)
	v_add_lshl_u32 v2, v1, v67, 2
	ds_bpermute_b32 v1, v2, v3
	ds_bpermute_b32 v2, v2, v4
	;; [unrolled: 17-line block ×4, first 2 shown]
	v_cmpx_lt_u32_e64 v6, v5
	s_cbranch_execz .LBB15_81
; %bb.80:
	s_waitcnt lgkmcnt(0)
	v_add_f64 v[3:4], v[3:4], v[1:2]
.LBB15_81:
	s_or_b32 exec_lo, exec_lo, s1
	s_mov_b32 s1, exec_lo
	v_cmpx_eq_u32_e32 0, v67
	s_cbranch_execz .LBB15_83
; %bb.82:
	s_waitcnt lgkmcnt(1)
	v_lshrrev_b32_e32 v1, 2, v0
	v_and_b32_e32 v1, 56, v1
	ds_write_b64 v1, v[3:4] offset:64
.LBB15_83:
	s_or_b32 exec_lo, exec_lo, s1
	s_mov_b32 s1, exec_lo
	s_waitcnt lgkmcnt(0)
	s_barrier
	buffer_gl0_inv
	v_cmpx_gt_u32_e32 8, v0
	s_cbranch_execz .LBB15_91
; %bb.84:
	v_lshlrev_b32_e32 v1, 3, v67
	v_and_b32_e32 v5, 7, v67
	s_add_i32 s0, s0, 31
	s_mov_b32 s2, exec_lo
	s_lshr_b32 s0, s0, 5
	ds_read_b64 v[3:4], v1 offset:64
	v_cmp_ne_u32_e32 vcc_lo, 7, v5
	v_add_nc_u32_e32 v6, 1, v5
	v_add_co_ci_u32_e32 v1, vcc_lo, 0, v67, vcc_lo
	v_lshlrev_b32_e32 v2, 2, v1
	s_waitcnt lgkmcnt(0)
	ds_bpermute_b32 v1, v2, v3
	ds_bpermute_b32 v2, v2, v4
	v_cmpx_gt_u32_e64 s0, v6
	s_cbranch_execz .LBB15_86
; %bb.85:
	s_waitcnt lgkmcnt(0)
	v_add_f64 v[3:4], v[3:4], v[1:2]
.LBB15_86:
	s_or_b32 exec_lo, exec_lo, s2
	v_cmp_gt_u32_e32 vcc_lo, 6, v5
	v_add_nc_u32_e32 v6, 2, v5
	s_mov_b32 s2, exec_lo
	s_waitcnt lgkmcnt(1)
	v_cndmask_b32_e64 v1, 0, 1, vcc_lo
	v_lshlrev_b32_e32 v1, 1, v1
	s_waitcnt lgkmcnt(0)
	v_add_lshl_u32 v2, v1, v67, 2
	ds_bpermute_b32 v1, v2, v3
	ds_bpermute_b32 v2, v2, v4
	v_cmpx_gt_u32_e64 s0, v6
	s_cbranch_execz .LBB15_88
; %bb.87:
	s_waitcnt lgkmcnt(0)
	v_add_f64 v[3:4], v[3:4], v[1:2]
.LBB15_88:
	s_or_b32 exec_lo, exec_lo, s2
	v_cmp_gt_u32_e32 vcc_lo, 4, v5
	v_add_nc_u32_e32 v5, 4, v5
	s_waitcnt lgkmcnt(1)
	v_cndmask_b32_e64 v1, 0, 1, vcc_lo
	v_cmp_gt_u32_e32 vcc_lo, s0, v5
	v_lshlrev_b32_e32 v1, 2, v1
	s_waitcnt lgkmcnt(0)
	v_add_lshl_u32 v2, v1, v67, 2
	ds_bpermute_b32 v1, v2, v3
	ds_bpermute_b32 v2, v2, v4
	s_and_saveexec_b32 s0, vcc_lo
	s_cbranch_execz .LBB15_90
; %bb.89:
	s_waitcnt lgkmcnt(0)
	v_add_f64 v[3:4], v[3:4], v[1:2]
.LBB15_90:
	s_or_b32 exec_lo, exec_lo, s0
.LBB15_91:
	s_or_b32 exec_lo, exec_lo, s1
.LBB15_92:
	s_mov_b32 s0, exec_lo
	v_cmpx_eq_u32_e32 0, v0
	s_cbranch_execz .LBB15_94
; %bb.93:
	s_waitcnt lgkmcnt(1)
	v_add_f64 v[0:1], v[3:4], s[34:35]
	s_lshl_b64 s[0:1], s[6:7], 3
	s_waitcnt lgkmcnt(0)
	v_mov_b32_e32 v2, 0
	s_add_u32 s0, s38, s0
	s_addc_u32 s1, s39, s1
	s_cmp_eq_u64 s[36:37], 0
	s_cselect_b32 s2, -1, 0
	v_cndmask_b32_e64 v1, v1, s35, s2
	v_cndmask_b32_e64 v0, v0, s34, s2
	global_store_dwordx2 v2, v[0:1], s[0:1]
.LBB15_94:
	s_endpgm
	.section	.rodata,"a",@progbits
	.p2align	6, 0x0
	.amdhsa_kernel _ZN7rocprim6detail19block_reduce_kernelILb1ELb1ELj4ENS0_21wrapped_reduce_configINS_14default_configEdEEdN6thrust11hip_rocprim26transform_input_iterator_tIdNS5_6detail15normal_iteratorINS5_10device_ptrIdEEEEZ4mainEUldE_EEPddNS5_4plusIdEEEEvT4_mT5_T6_T7_
		.amdhsa_group_segment_fixed_size 128
		.amdhsa_private_segment_fixed_size 0
		.amdhsa_kernarg_size 44
		.amdhsa_user_sgpr_count 6
		.amdhsa_user_sgpr_private_segment_buffer 1
		.amdhsa_user_sgpr_dispatch_ptr 0
		.amdhsa_user_sgpr_queue_ptr 0
		.amdhsa_user_sgpr_kernarg_segment_ptr 1
		.amdhsa_user_sgpr_dispatch_id 0
		.amdhsa_user_sgpr_flat_scratch_init 0
		.amdhsa_user_sgpr_private_segment_size 0
		.amdhsa_wavefront_size32 1
		.amdhsa_uses_dynamic_stack 0
		.amdhsa_system_sgpr_private_segment_wavefront_offset 0
		.amdhsa_system_sgpr_workgroup_id_x 1
		.amdhsa_system_sgpr_workgroup_id_y 0
		.amdhsa_system_sgpr_workgroup_id_z 0
		.amdhsa_system_sgpr_workgroup_info 0
		.amdhsa_system_vgpr_workitem_id 0
		.amdhsa_next_free_vgpr 68
		.amdhsa_next_free_sgpr 42
		.amdhsa_reserve_vcc 1
		.amdhsa_reserve_flat_scratch 0
		.amdhsa_float_round_mode_32 0
		.amdhsa_float_round_mode_16_64 0
		.amdhsa_float_denorm_mode_32 3
		.amdhsa_float_denorm_mode_16_64 3
		.amdhsa_dx10_clamp 1
		.amdhsa_ieee_mode 1
		.amdhsa_fp16_overflow 0
		.amdhsa_workgroup_processor_mode 1
		.amdhsa_memory_ordered 1
		.amdhsa_forward_progress 0
		.amdhsa_shared_vgpr_count 0
		.amdhsa_exception_fp_ieee_invalid_op 0
		.amdhsa_exception_fp_denorm_src 0
		.amdhsa_exception_fp_ieee_div_zero 0
		.amdhsa_exception_fp_ieee_overflow 0
		.amdhsa_exception_fp_ieee_underflow 0
		.amdhsa_exception_fp_ieee_inexact 0
		.amdhsa_exception_int_div_zero 0
	.end_amdhsa_kernel
	.section	.text._ZN7rocprim6detail19block_reduce_kernelILb1ELb1ELj4ENS0_21wrapped_reduce_configINS_14default_configEdEEdN6thrust11hip_rocprim26transform_input_iterator_tIdNS5_6detail15normal_iteratorINS5_10device_ptrIdEEEEZ4mainEUldE_EEPddNS5_4plusIdEEEEvT4_mT5_T6_T7_,"axG",@progbits,_ZN7rocprim6detail19block_reduce_kernelILb1ELb1ELj4ENS0_21wrapped_reduce_configINS_14default_configEdEEdN6thrust11hip_rocprim26transform_input_iterator_tIdNS5_6detail15normal_iteratorINS5_10device_ptrIdEEEEZ4mainEUldE_EEPddNS5_4plusIdEEEEvT4_mT5_T6_T7_,comdat
.Lfunc_end15:
	.size	_ZN7rocprim6detail19block_reduce_kernelILb1ELb1ELj4ENS0_21wrapped_reduce_configINS_14default_configEdEEdN6thrust11hip_rocprim26transform_input_iterator_tIdNS5_6detail15normal_iteratorINS5_10device_ptrIdEEEEZ4mainEUldE_EEPddNS5_4plusIdEEEEvT4_mT5_T6_T7_, .Lfunc_end15-_ZN7rocprim6detail19block_reduce_kernelILb1ELb1ELj4ENS0_21wrapped_reduce_configINS_14default_configEdEEdN6thrust11hip_rocprim26transform_input_iterator_tIdNS5_6detail15normal_iteratorINS5_10device_ptrIdEEEEZ4mainEUldE_EEPddNS5_4plusIdEEEEvT4_mT5_T6_T7_
                                        ; -- End function
	.section	.AMDGPU.csdata,"",@progbits
; Kernel info:
; codeLenInByte = 5060
; NumSgprs: 44
; NumVgprs: 68
; ScratchSize: 0
; MemoryBound: 1
; FloatMode: 240
; IeeeMode: 1
; LDSByteSize: 128 bytes/workgroup (compile time only)
; SGPRBlocks: 5
; VGPRBlocks: 8
; NumSGPRsForWavesPerEU: 44
; NumVGPRsForWavesPerEU: 68
; Occupancy: 12
; WaveLimiterHint : 1
; COMPUTE_PGM_RSRC2:SCRATCH_EN: 0
; COMPUTE_PGM_RSRC2:USER_SGPR: 6
; COMPUTE_PGM_RSRC2:TRAP_HANDLER: 0
; COMPUTE_PGM_RSRC2:TGID_X_EN: 1
; COMPUTE_PGM_RSRC2:TGID_Y_EN: 0
; COMPUTE_PGM_RSRC2:TGID_Z_EN: 0
; COMPUTE_PGM_RSRC2:TIDIG_COMP_CNT: 0
	.section	.text._ZN7rocprim6detail19block_reduce_kernelILb1ELb1ELj8ENS0_21wrapped_reduce_configINS_14default_configEdEEdN6thrust11hip_rocprim26transform_input_iterator_tIdNS5_6detail15normal_iteratorINS5_10device_ptrIdEEEEZ4mainEUldE_EEPddNS5_4plusIdEEEEvT4_mT5_T6_T7_,"axG",@progbits,_ZN7rocprim6detail19block_reduce_kernelILb1ELb1ELj8ENS0_21wrapped_reduce_configINS_14default_configEdEEdN6thrust11hip_rocprim26transform_input_iterator_tIdNS5_6detail15normal_iteratorINS5_10device_ptrIdEEEEZ4mainEUldE_EEPddNS5_4plusIdEEEEvT4_mT5_T6_T7_,comdat
	.globl	_ZN7rocprim6detail19block_reduce_kernelILb1ELb1ELj8ENS0_21wrapped_reduce_configINS_14default_configEdEEdN6thrust11hip_rocprim26transform_input_iterator_tIdNS5_6detail15normal_iteratorINS5_10device_ptrIdEEEEZ4mainEUldE_EEPddNS5_4plusIdEEEEvT4_mT5_T6_T7_ ; -- Begin function _ZN7rocprim6detail19block_reduce_kernelILb1ELb1ELj8ENS0_21wrapped_reduce_configINS_14default_configEdEEdN6thrust11hip_rocprim26transform_input_iterator_tIdNS5_6detail15normal_iteratorINS5_10device_ptrIdEEEEZ4mainEUldE_EEPddNS5_4plusIdEEEEvT4_mT5_T6_T7_
	.p2align	8
	.type	_ZN7rocprim6detail19block_reduce_kernelILb1ELb1ELj8ENS0_21wrapped_reduce_configINS_14default_configEdEEdN6thrust11hip_rocprim26transform_input_iterator_tIdNS5_6detail15normal_iteratorINS5_10device_ptrIdEEEEZ4mainEUldE_EEPddNS5_4plusIdEEEEvT4_mT5_T6_T7_,@function
_ZN7rocprim6detail19block_reduce_kernelILb1ELb1ELj8ENS0_21wrapped_reduce_configINS_14default_configEdEEdN6thrust11hip_rocprim26transform_input_iterator_tIdNS5_6detail15normal_iteratorINS5_10device_ptrIdEEEEZ4mainEUldE_EEPddNS5_4plusIdEEEEvT4_mT5_T6_T7_: ; @_ZN7rocprim6detail19block_reduce_kernelILb1ELb1ELj8ENS0_21wrapped_reduce_configINS_14default_configEdEEdN6thrust11hip_rocprim26transform_input_iterator_tIdNS5_6detail15normal_iteratorINS5_10device_ptrIdEEEEZ4mainEUldE_EEPddNS5_4plusIdEEEEvT4_mT5_T6_T7_
; %bb.0:
	s_clause 0x2
	s_load_dwordx4 s[68:71], s[4:5], 0x10
	s_load_dwordx2 s[2:3], s[4:5], 0x0
	s_load_dwordx2 s[66:67], s[4:5], 0x20
	s_mov_b32 s1, 0
	s_lshl_b32 s0, s6, 14
	v_lshlrev_b32_e32 v1, 3, v0
	s_lshl_b64 s[4:5], s[0:1], 3
	s_mov_b32 s7, s1
	v_mbcnt_lo_u32_b32 v131, -1, 0
	s_waitcnt lgkmcnt(0)
	s_lshr_b64 s[8:9], s[68:69], 14
	s_add_u32 s1, s2, s4
	s_addc_u32 s2, s3, s5
	v_add_co_u32 v1, s1, s1, v1
	v_add_co_ci_u32_e64 v2, null, s2, 0, s1
	s_cmp_lg_u64 s[8:9], s[6:7]
	s_cbranch_scc0 .LBB16_6
; %bb.1:
	v_add_co_u32 v3, vcc_lo, v1, 0x1000
	v_add_co_ci_u32_e32 v4, vcc_lo, 0, v2, vcc_lo
	v_add_co_u32 v9, vcc_lo, v1, 0x2000
	s_clause 0x2
	global_load_dwordx2 v[5:6], v[1:2], off
	global_load_dwordx2 v[7:8], v[3:4], off offset:-2048
	global_load_dwordx2 v[3:4], v[3:4], off
	v_add_co_ci_u32_e32 v10, vcc_lo, 0, v2, vcc_lo
	v_add_co_u32 v13, vcc_lo, v1, 0x3000
	s_clause 0x1
	global_load_dwordx2 v[11:12], v[9:10], off offset:-2048
	global_load_dwordx2 v[9:10], v[9:10], off
	v_add_co_ci_u32_e32 v14, vcc_lo, 0, v2, vcc_lo
	s_clause 0x1
	global_load_dwordx2 v[15:16], v[13:14], off offset:-2048
	global_load_dwordx2 v[13:14], v[13:14], off
	v_add_co_u32 v17, vcc_lo, v1, 0x4000
	v_add_co_ci_u32_e32 v18, vcc_lo, 0, v2, vcc_lo
	s_clause 0x1
	global_load_dwordx2 v[19:20], v[17:18], off offset:-2048
	global_load_dwordx2 v[17:18], v[17:18], off
	v_add_co_u32 v21, vcc_lo, v1, 0x5000
	;; [unrolled: 5-line block ×5, first 2 shown]
	v_add_co_ci_u32_e32 v34, vcc_lo, 0, v2, vcc_lo
	v_add_co_u32 v37, vcc_lo, 0x1f800, v1
	v_add_co_ci_u32_e32 v38, vcc_lo, 0, v2, vcc_lo
	global_load_dwordx2 v[35:36], v[33:34], off offset:-2048
	s_mov_b32 s1, exec_lo
	global_load_dwordx2 v[37:38], v[37:38], off
	s_waitcnt vmcnt(15)
	v_add_f64 v[5:6], |v[5:6]|, |v[7:8]|
	global_load_dwordx2 v[7:8], v[33:34], off
	s_waitcnt vmcnt(15)
	v_add_f64 v[3:4], v[5:6], |v[3:4]|
	v_add_co_u32 v5, vcc_lo, v1, 0x9000
	v_add_co_ci_u32_e32 v6, vcc_lo, 0, v2, vcc_lo
	global_load_dwordx2 v[33:34], v[5:6], off offset:-2048
	s_waitcnt vmcnt(15)
	v_add_f64 v[3:4], v[3:4], |v[11:12]|
	s_waitcnt vmcnt(14)
	v_add_f64 v[3:4], v[3:4], |v[9:10]|
	v_add_co_u32 v9, vcc_lo, v1, 0xa000
	v_add_co_ci_u32_e32 v10, vcc_lo, 0, v2, vcc_lo
	global_load_dwordx2 v[11:12], v[9:10], off offset:-2048
	s_waitcnt vmcnt(14)
	v_add_f64 v[3:4], v[3:4], |v[15:16]|
	s_waitcnt vmcnt(13)
	v_add_f64 v[3:4], v[3:4], |v[13:14]|
	v_add_co_u32 v13, vcc_lo, v1, 0xb000
	v_add_co_ci_u32_e32 v14, vcc_lo, 0, v2, vcc_lo
	s_clause 0x1
	global_load_dwordx2 v[15:16], v[13:14], off offset:-2048
	global_load_dwordx2 v[13:14], v[13:14], off
	s_waitcnt vmcnt(14)
	v_add_f64 v[3:4], v[3:4], |v[19:20]|
	s_waitcnt vmcnt(13)
	v_add_f64 v[3:4], v[3:4], |v[17:18]|
	v_add_co_u32 v17, vcc_lo, v1, 0xc000
	v_add_co_ci_u32_e32 v18, vcc_lo, 0, v2, vcc_lo
	global_load_dwordx2 v[19:20], v[17:18], off offset:-2048
	s_waitcnt vmcnt(13)
	v_add_f64 v[3:4], v[3:4], |v[23:24]|
	s_waitcnt vmcnt(12)
	v_add_f64 v[3:4], v[3:4], |v[21:22]|
	v_add_co_u32 v21, vcc_lo, v1, 0xd000
	v_add_co_ci_u32_e32 v22, vcc_lo, 0, v2, vcc_lo
	global_load_dwordx2 v[23:24], v[21:22], off offset:-2048
	;; [unrolled: 7-line block ×3, first 2 shown]
	s_waitcnt vmcnt(11)
	v_add_f64 v[3:4], v[3:4], |v[31:32]|
	s_waitcnt vmcnt(10)
	v_add_f64 v[3:4], v[3:4], |v[29:30]|
	v_add_co_u32 v29, vcc_lo, v1, 0xf000
	v_add_co_ci_u32_e32 v30, vcc_lo, 0, v2, vcc_lo
	s_clause 0x3
	global_load_dwordx2 v[31:32], v[29:30], off offset:-2048
	global_load_dwordx2 v[21:22], v[21:22], off
	global_load_dwordx2 v[25:26], v[25:26], off
	;; [unrolled: 1-line block ×3, first 2 shown]
	s_waitcnt vmcnt(13)
	v_add_f64 v[3:4], v[3:4], |v[35:36]|
	s_waitcnt vmcnt(11)
	v_add_f64 v[3:4], v[3:4], |v[7:8]|
	v_add_co_u32 v7, vcc_lo, v1, 0x10000
	v_add_co_ci_u32_e32 v8, vcc_lo, 0, v2, vcc_lo
	s_clause 0x3
	global_load_dwordx2 v[35:36], v[7:8], off offset:-2048
	global_load_dwordx2 v[5:6], v[5:6], off
	global_load_dwordx2 v[7:8], v[7:8], off
	global_load_dwordx2 v[9:10], v[9:10], off
	s_waitcnt vmcnt(14)
	v_add_f64 v[3:4], v[3:4], |v[33:34]|
	s_waitcnt vmcnt(2)
	v_add_f64 v[3:4], v[3:4], |v[5:6]|
	v_add_co_u32 v5, vcc_lo, v1, 0x11000
	v_add_co_ci_u32_e32 v6, vcc_lo, 0, v2, vcc_lo
	global_load_dwordx2 v[33:34], v[5:6], off offset:-2048
	v_add_f64 v[3:4], v[3:4], |v[11:12]|
	s_waitcnt vmcnt(1)
	v_add_f64 v[3:4], v[3:4], |v[9:10]|
	v_add_co_u32 v9, vcc_lo, v1, 0x12000
	v_add_co_ci_u32_e32 v10, vcc_lo, 0, v2, vcc_lo
	global_load_dwordx2 v[11:12], v[9:10], off offset:-2048
	v_add_f64 v[3:4], v[3:4], |v[15:16]|
	v_add_f64 v[3:4], v[3:4], |v[13:14]|
	v_add_co_u32 v13, vcc_lo, v1, 0x13000
	v_add_co_ci_u32_e32 v14, vcc_lo, 0, v2, vcc_lo
	s_clause 0x1
	global_load_dwordx2 v[15:16], v[13:14], off offset:-2048
	global_load_dwordx2 v[17:18], v[17:18], off
	v_add_f64 v[3:4], v[3:4], |v[19:20]|
	s_waitcnt vmcnt(0)
	v_add_f64 v[3:4], v[3:4], |v[17:18]|
	v_add_co_u32 v17, vcc_lo, v1, 0x14000
	v_add_co_ci_u32_e32 v18, vcc_lo, 0, v2, vcc_lo
	s_clause 0x1
	global_load_dwordx2 v[19:20], v[17:18], off offset:-2048
	global_load_dwordx2 v[17:18], v[17:18], off
	v_add_f64 v[3:4], v[3:4], |v[23:24]|
	v_add_f64 v[3:4], v[3:4], |v[21:22]|
	v_add_co_u32 v21, vcc_lo, v1, 0x15000
	v_add_co_ci_u32_e32 v22, vcc_lo, 0, v2, vcc_lo
	s_clause 0x1
	global_load_dwordx2 v[23:24], v[21:22], off offset:-2048
	global_load_dwordx2 v[21:22], v[21:22], off
	v_add_f64 v[3:4], v[3:4], |v[27:28]|
	v_add_f64 v[3:4], v[3:4], |v[25:26]|
	v_add_co_u32 v25, vcc_lo, v1, 0x16000
	v_add_co_ci_u32_e32 v26, vcc_lo, 0, v2, vcc_lo
	global_load_dwordx2 v[27:28], v[25:26], off offset:-2048
	v_add_f64 v[3:4], v[3:4], |v[31:32]|
	v_add_f64 v[3:4], v[3:4], |v[29:30]|
	v_add_co_u32 v29, vcc_lo, v1, 0x17000
	v_add_co_ci_u32_e32 v30, vcc_lo, 0, v2, vcc_lo
	s_clause 0x2
	global_load_dwordx2 v[31:32], v[29:30], off offset:-2048
	global_load_dwordx2 v[25:26], v[25:26], off
	global_load_dwordx2 v[29:30], v[29:30], off
	v_add_f64 v[3:4], v[3:4], |v[35:36]|
	v_add_f64 v[3:4], v[3:4], |v[7:8]|
	v_add_co_u32 v7, vcc_lo, v1, 0x18000
	v_add_co_ci_u32_e32 v8, vcc_lo, 0, v2, vcc_lo
	s_clause 0x4
	global_load_dwordx2 v[35:36], v[7:8], off offset:-2048
	global_load_dwordx2 v[5:6], v[5:6], off
	global_load_dwordx2 v[13:14], v[13:14], off
	;; [unrolled: 1-line block ×4, first 2 shown]
	v_add_f64 v[3:4], v[3:4], |v[33:34]|
	s_waitcnt vmcnt(3)
	v_add_f64 v[3:4], v[3:4], |v[5:6]|
	v_add_co_u32 v5, vcc_lo, v1, 0x19000
	v_add_co_ci_u32_e32 v6, vcc_lo, 0, v2, vcc_lo
	s_clause 0x1
	global_load_dwordx2 v[33:34], v[5:6], off offset:-2048
	global_load_dwordx2 v[5:6], v[5:6], off
	v_add_f64 v[3:4], v[3:4], |v[11:12]|
	s_waitcnt vmcnt(3)
	v_add_f64 v[3:4], v[3:4], |v[9:10]|
	v_add_co_u32 v9, vcc_lo, v1, 0x1a000
	v_add_co_ci_u32_e32 v10, vcc_lo, 0, v2, vcc_lo
	global_load_dwordx2 v[11:12], v[9:10], off offset:-2048
	v_add_f64 v[3:4], v[3:4], |v[15:16]|
	v_add_f64 v[3:4], v[3:4], |v[13:14]|
	v_add_co_u32 v13, vcc_lo, v1, 0x1b000
	v_add_co_ci_u32_e32 v14, vcc_lo, 0, v2, vcc_lo
	global_load_dwordx2 v[15:16], v[13:14], off offset:-2048
	v_add_f64 v[3:4], v[3:4], |v[19:20]|
	v_add_f64 v[3:4], v[3:4], |v[17:18]|
	v_add_co_u32 v17, vcc_lo, v1, 0x1c000
	v_add_co_ci_u32_e32 v18, vcc_lo, 0, v2, vcc_lo
	s_clause 0x3
	global_load_dwordx2 v[19:20], v[17:18], off offset:-2048
	global_load_dwordx2 v[9:10], v[9:10], off
	global_load_dwordx2 v[13:14], v[13:14], off
	;; [unrolled: 1-line block ×3, first 2 shown]
	v_add_f64 v[3:4], v[3:4], |v[23:24]|
	v_add_f64 v[3:4], v[3:4], |v[21:22]|
	v_add_co_u32 v21, vcc_lo, v1, 0x1d000
	v_add_co_ci_u32_e32 v22, vcc_lo, 0, v2, vcc_lo
	s_clause 0x1
	global_load_dwordx2 v[23:24], v[21:22], off offset:-2048
	global_load_dwordx2 v[21:22], v[21:22], off
	v_add_f64 v[3:4], v[3:4], |v[27:28]|
	v_add_f64 v[3:4], v[3:4], |v[25:26]|
	v_add_co_u32 v25, vcc_lo, v1, 0x1e000
	v_add_co_ci_u32_e32 v26, vcc_lo, 0, v2, vcc_lo
	global_load_dwordx2 v[27:28], v[25:26], off offset:-2048
	v_add_f64 v[3:4], v[3:4], |v[31:32]|
	v_add_f64 v[3:4], v[3:4], |v[29:30]|
	v_add_co_u32 v29, vcc_lo, v1, 0x1f000
	v_add_co_ci_u32_e32 v30, vcc_lo, 0, v2, vcc_lo
	s_clause 0x2
	global_load_dwordx2 v[31:32], v[29:30], off offset:-2048
	global_load_dwordx2 v[25:26], v[25:26], off
	global_load_dwordx2 v[29:30], v[29:30], off
	v_add_f64 v[3:4], v[3:4], |v[35:36]|
	s_waitcnt vmcnt(14)
	v_add_f64 v[3:4], v[3:4], |v[7:8]|
	s_waitcnt vmcnt(13)
	;; [unrolled: 2-line block ×5, first 2 shown]
	v_add_f64 v[3:4], v[3:4], |v[9:10]|
	v_add_f64 v[3:4], v[3:4], |v[15:16]|
	s_waitcnt vmcnt(7)
	v_add_f64 v[3:4], v[3:4], |v[13:14]|
	v_add_f64 v[3:4], v[3:4], |v[19:20]|
	s_waitcnt vmcnt(6)
	v_add_f64 v[3:4], v[3:4], |v[17:18]|
	s_waitcnt vmcnt(5)
	;; [unrolled: 2-line block ×5, first 2 shown]
	v_add_f64 v[3:4], v[3:4], |v[25:26]|
	v_add_f64 v[3:4], v[3:4], |v[31:32]|
	s_waitcnt vmcnt(0)
	v_add_f64 v[3:4], v[3:4], |v[29:30]|
	v_add_f64 v[3:4], v[3:4], |v[37:38]|
	v_mov_b32_dpp v5, v3 quad_perm:[1,0,3,2] row_mask:0xf bank_mask:0xf
	v_mov_b32_dpp v6, v4 quad_perm:[1,0,3,2] row_mask:0xf bank_mask:0xf
	v_add_f64 v[3:4], v[3:4], v[5:6]
	v_mov_b32_dpp v5, v3 quad_perm:[2,3,0,1] row_mask:0xf bank_mask:0xf
	v_mov_b32_dpp v6, v4 quad_perm:[2,3,0,1] row_mask:0xf bank_mask:0xf
	v_add_f64 v[3:4], v[3:4], v[5:6]
	v_mov_b32_dpp v5, v3 row_ror:4 row_mask:0xf bank_mask:0xf
	v_mov_b32_dpp v6, v4 row_ror:4 row_mask:0xf bank_mask:0xf
	v_add_f64 v[3:4], v[3:4], v[5:6]
	v_mov_b32_dpp v5, v3 row_ror:8 row_mask:0xf bank_mask:0xf
	v_mov_b32_dpp v6, v4 row_ror:8 row_mask:0xf bank_mask:0xf
	v_add_f64 v[3:4], v[3:4], v[5:6]
	ds_swizzle_b32 v5, v3 offset:swizzle(BROADCAST,32,15)
	ds_swizzle_b32 v6, v4 offset:swizzle(BROADCAST,32,15)
	s_waitcnt lgkmcnt(0)
	v_add_f64 v[3:4], v[3:4], v[5:6]
	v_mov_b32_e32 v5, 0
	ds_bpermute_b32 v3, v5, v3 offset:124
	ds_bpermute_b32 v4, v5, v4 offset:124
	v_cmpx_eq_u32_e32 0, v131
	s_cbranch_execz .LBB16_3
; %bb.2:
	v_lshrrev_b32_e32 v5, 2, v0
	v_and_b32_e32 v5, 56, v5
	s_waitcnt lgkmcnt(0)
	ds_write_b64 v5, v[3:4]
.LBB16_3:
	s_or_b32 exec_lo, exec_lo, s1
	s_mov_b32 s1, exec_lo
	s_waitcnt lgkmcnt(0)
	s_barrier
	buffer_gl0_inv
	v_cmpx_gt_u32_e32 32, v0
	s_cbranch_execz .LBB16_5
; %bb.4:
	v_and_b32_e32 v7, 7, v131
	v_lshlrev_b32_e32 v3, 3, v7
	v_cmp_ne_u32_e32 vcc_lo, 7, v7
	ds_read_b64 v[3:4], v3
	v_add_co_ci_u32_e32 v5, vcc_lo, 0, v131, vcc_lo
	v_cmp_gt_u32_e32 vcc_lo, 6, v7
	v_lshlrev_b32_e32 v6, 2, v5
	s_waitcnt lgkmcnt(0)
	ds_bpermute_b32 v5, v6, v3
	ds_bpermute_b32 v6, v6, v4
	s_waitcnt lgkmcnt(0)
	v_add_f64 v[3:4], v[3:4], v[5:6]
	v_cndmask_b32_e64 v5, 0, 1, vcc_lo
	v_cmp_gt_u32_e32 vcc_lo, 4, v7
	v_lshlrev_b32_e32 v5, 1, v5
	v_add_lshl_u32 v6, v5, v131, 2
	ds_bpermute_b32 v5, v6, v3
	ds_bpermute_b32 v6, v6, v4
	s_waitcnt lgkmcnt(0)
	v_add_f64 v[3:4], v[3:4], v[5:6]
	v_cndmask_b32_e64 v5, 0, 1, vcc_lo
	v_lshlrev_b32_e32 v5, 2, v5
	v_add_lshl_u32 v6, v5, v131, 2
	ds_bpermute_b32 v5, v6, v3
	ds_bpermute_b32 v6, v6, v4
	s_waitcnt lgkmcnt(0)
	v_add_f64 v[3:4], v[3:4], v[5:6]
.LBB16_5:
	s_or_b32 exec_lo, exec_lo, s1
	s_branch .LBB16_156
.LBB16_6:
                                        ; implicit-def: $vgpr3_vgpr4
	s_cbranch_execz .LBB16_156
; %bb.7:
	s_sub_i32 s72, s68, s0
	s_mov_b32 s0, exec_lo
                                        ; implicit-def: $vgpr3_vgpr4
	v_cmpx_gt_u32_e64 s72, v0
	s_cbranch_execz .LBB16_9
; %bb.8:
	global_load_dwordx2 v[3:4], v[1:2], off
	s_waitcnt vmcnt(0)
	v_and_b32_e32 v4, 0x7fffffff, v4
.LBB16_9:
	s_or_b32 exec_lo, exec_lo, s0
	v_or_b32_e32 v5, 0x100, v0
	v_cmp_gt_u32_e32 vcc_lo, s72, v5
                                        ; implicit-def: $vgpr5_vgpr6
	s_and_saveexec_b32 s1, vcc_lo
	s_cbranch_execz .LBB16_11
; %bb.10:
	v_add_co_u32 v5, s0, 0x800, v1
	v_add_co_ci_u32_e64 v6, s0, 0, v2, s0
	global_load_dwordx2 v[5:6], v[5:6], off
	s_waitcnt vmcnt(0)
	v_and_b32_e32 v6, 0x7fffffff, v6
.LBB16_11:
	s_or_b32 exec_lo, exec_lo, s1
	v_or_b32_e32 v7, 0x200, v0
	v_cmp_gt_u32_e64 s0, s72, v7
                                        ; implicit-def: $vgpr7_vgpr8
	s_and_saveexec_b32 s2, s0
	s_cbranch_execz .LBB16_13
; %bb.12:
	v_add_co_u32 v7, s1, 0x1000, v1
	v_add_co_ci_u32_e64 v8, s1, 0, v2, s1
	global_load_dwordx2 v[7:8], v[7:8], off
	s_waitcnt vmcnt(0)
	v_and_b32_e32 v8, 0x7fffffff, v8
.LBB16_13:
	s_or_b32 exec_lo, exec_lo, s2
	v_or_b32_e32 v9, 0x300, v0
	v_cmp_gt_u32_e64 s1, s72, v9
                                        ; implicit-def: $vgpr9_vgpr10
	s_and_saveexec_b32 s3, s1
	s_cbranch_execz .LBB16_15
; %bb.14:
	v_add_co_u32 v9, s2, 0x1800, v1
	v_add_co_ci_u32_e64 v10, s2, 0, v2, s2
	global_load_dwordx2 v[9:10], v[9:10], off
	s_waitcnt vmcnt(0)
	v_and_b32_e32 v10, 0x7fffffff, v10
.LBB16_15:
	s_or_b32 exec_lo, exec_lo, s3
	v_or_b32_e32 v11, 0x400, v0
	v_cmp_gt_u32_e64 s2, s72, v11
                                        ; implicit-def: $vgpr11_vgpr12
	s_and_saveexec_b32 s4, s2
	s_cbranch_execz .LBB16_17
; %bb.16:
	v_add_co_u32 v11, s3, 0x2000, v1
	v_add_co_ci_u32_e64 v12, s3, 0, v2, s3
	global_load_dwordx2 v[11:12], v[11:12], off
	s_waitcnt vmcnt(0)
	v_and_b32_e32 v12, 0x7fffffff, v12
.LBB16_17:
	s_or_b32 exec_lo, exec_lo, s4
	v_or_b32_e32 v13, 0x500, v0
	v_cmp_gt_u32_e64 s3, s72, v13
                                        ; implicit-def: $vgpr13_vgpr14
	s_and_saveexec_b32 s5, s3
	s_cbranch_execz .LBB16_19
; %bb.18:
	v_add_co_u32 v13, s4, 0x2800, v1
	v_add_co_ci_u32_e64 v14, s4, 0, v2, s4
	global_load_dwordx2 v[13:14], v[13:14], off
	s_waitcnt vmcnt(0)
	v_and_b32_e32 v14, 0x7fffffff, v14
.LBB16_19:
	s_or_b32 exec_lo, exec_lo, s5
	v_or_b32_e32 v15, 0x600, v0
	v_cmp_gt_u32_e64 s4, s72, v15
                                        ; implicit-def: $vgpr15_vgpr16
	s_and_saveexec_b32 s8, s4
	s_cbranch_execz .LBB16_21
; %bb.20:
	v_add_co_u32 v15, s5, 0x3000, v1
	v_add_co_ci_u32_e64 v16, s5, 0, v2, s5
	global_load_dwordx2 v[15:16], v[15:16], off
	s_waitcnt vmcnt(0)
	v_and_b32_e32 v16, 0x7fffffff, v16
.LBB16_21:
	s_or_b32 exec_lo, exec_lo, s8
	v_or_b32_e32 v17, 0x700, v0
	v_cmp_gt_u32_e64 s5, s72, v17
                                        ; implicit-def: $vgpr17_vgpr18
	s_and_saveexec_b32 s9, s5
	s_cbranch_execz .LBB16_23
; %bb.22:
	v_add_co_u32 v17, s8, 0x3800, v1
	v_add_co_ci_u32_e64 v18, s8, 0, v2, s8
	global_load_dwordx2 v[17:18], v[17:18], off
	s_waitcnt vmcnt(0)
	v_and_b32_e32 v18, 0x7fffffff, v18
.LBB16_23:
	s_or_b32 exec_lo, exec_lo, s9
	v_or_b32_e32 v19, 0x800, v0
	v_cmp_gt_u32_e64 s8, s72, v19
                                        ; implicit-def: $vgpr19_vgpr20
	s_and_saveexec_b32 s10, s8
	s_cbranch_execz .LBB16_25
; %bb.24:
	v_add_co_u32 v19, s9, 0x4000, v1
	v_add_co_ci_u32_e64 v20, s9, 0, v2, s9
	global_load_dwordx2 v[19:20], v[19:20], off
	s_waitcnt vmcnt(0)
	v_and_b32_e32 v20, 0x7fffffff, v20
.LBB16_25:
	s_or_b32 exec_lo, exec_lo, s10
	v_or_b32_e32 v21, 0x900, v0
	v_cmp_gt_u32_e64 s9, s72, v21
                                        ; implicit-def: $vgpr21_vgpr22
	s_and_saveexec_b32 s11, s9
	s_cbranch_execz .LBB16_27
; %bb.26:
	v_add_co_u32 v21, s10, 0x4800, v1
	v_add_co_ci_u32_e64 v22, s10, 0, v2, s10
	global_load_dwordx2 v[21:22], v[21:22], off
	s_waitcnt vmcnt(0)
	v_and_b32_e32 v22, 0x7fffffff, v22
.LBB16_27:
	s_or_b32 exec_lo, exec_lo, s11
	v_or_b32_e32 v23, 0xa00, v0
	v_cmp_gt_u32_e64 s10, s72, v23
                                        ; implicit-def: $vgpr23_vgpr24
	s_and_saveexec_b32 s12, s10
	s_cbranch_execz .LBB16_29
; %bb.28:
	v_add_co_u32 v23, s11, 0x5000, v1
	v_add_co_ci_u32_e64 v24, s11, 0, v2, s11
	global_load_dwordx2 v[23:24], v[23:24], off
	s_waitcnt vmcnt(0)
	v_and_b32_e32 v24, 0x7fffffff, v24
.LBB16_29:
	s_or_b32 exec_lo, exec_lo, s12
	v_or_b32_e32 v25, 0xb00, v0
	v_cmp_gt_u32_e64 s11, s72, v25
                                        ; implicit-def: $vgpr25_vgpr26
	s_and_saveexec_b32 s13, s11
	s_cbranch_execz .LBB16_31
; %bb.30:
	v_add_co_u32 v25, s12, 0x5800, v1
	v_add_co_ci_u32_e64 v26, s12, 0, v2, s12
	global_load_dwordx2 v[25:26], v[25:26], off
	s_waitcnt vmcnt(0)
	v_and_b32_e32 v26, 0x7fffffff, v26
.LBB16_31:
	s_or_b32 exec_lo, exec_lo, s13
	v_or_b32_e32 v27, 0xc00, v0
	v_cmp_gt_u32_e64 s12, s72, v27
                                        ; implicit-def: $vgpr27_vgpr28
	s_and_saveexec_b32 s14, s12
	s_cbranch_execz .LBB16_33
; %bb.32:
	v_add_co_u32 v27, s13, 0x6000, v1
	v_add_co_ci_u32_e64 v28, s13, 0, v2, s13
	global_load_dwordx2 v[27:28], v[27:28], off
	s_waitcnt vmcnt(0)
	v_and_b32_e32 v28, 0x7fffffff, v28
.LBB16_33:
	s_or_b32 exec_lo, exec_lo, s14
	v_or_b32_e32 v29, 0xd00, v0
	v_cmp_gt_u32_e64 s13, s72, v29
                                        ; implicit-def: $vgpr29_vgpr30
	s_and_saveexec_b32 s15, s13
	s_cbranch_execz .LBB16_35
; %bb.34:
	v_add_co_u32 v29, s14, 0x6800, v1
	v_add_co_ci_u32_e64 v30, s14, 0, v2, s14
	global_load_dwordx2 v[29:30], v[29:30], off
	s_waitcnt vmcnt(0)
	v_and_b32_e32 v30, 0x7fffffff, v30
.LBB16_35:
	s_or_b32 exec_lo, exec_lo, s15
	v_or_b32_e32 v31, 0xe00, v0
	v_cmp_gt_u32_e64 s14, s72, v31
                                        ; implicit-def: $vgpr31_vgpr32
	s_and_saveexec_b32 s16, s14
	s_cbranch_execz .LBB16_37
; %bb.36:
	v_add_co_u32 v31, s15, 0x7000, v1
	v_add_co_ci_u32_e64 v32, s15, 0, v2, s15
	global_load_dwordx2 v[31:32], v[31:32], off
	s_waitcnt vmcnt(0)
	v_and_b32_e32 v32, 0x7fffffff, v32
.LBB16_37:
	s_or_b32 exec_lo, exec_lo, s16
	v_or_b32_e32 v33, 0xf00, v0
	v_cmp_gt_u32_e64 s15, s72, v33
                                        ; implicit-def: $vgpr33_vgpr34
	s_and_saveexec_b32 s17, s15
	s_cbranch_execz .LBB16_39
; %bb.38:
	v_add_co_u32 v33, s16, 0x7800, v1
	v_add_co_ci_u32_e64 v34, s16, 0, v2, s16
	global_load_dwordx2 v[33:34], v[33:34], off
	s_waitcnt vmcnt(0)
	v_and_b32_e32 v34, 0x7fffffff, v34
.LBB16_39:
	s_or_b32 exec_lo, exec_lo, s17
	v_or_b32_e32 v35, 0x1000, v0
	v_cmp_gt_u32_e64 s16, s72, v35
                                        ; implicit-def: $vgpr35_vgpr36
	s_and_saveexec_b32 s18, s16
	s_cbranch_execz .LBB16_41
; %bb.40:
	v_add_co_u32 v35, s17, 0x8000, v1
	v_add_co_ci_u32_e64 v36, s17, 0, v2, s17
	global_load_dwordx2 v[35:36], v[35:36], off
	s_waitcnt vmcnt(0)
	v_and_b32_e32 v36, 0x7fffffff, v36
.LBB16_41:
	s_or_b32 exec_lo, exec_lo, s18
	v_or_b32_e32 v37, 0x1100, v0
	v_cmp_gt_u32_e64 s17, s72, v37
                                        ; implicit-def: $vgpr37_vgpr38
	s_and_saveexec_b32 s19, s17
	s_cbranch_execz .LBB16_43
; %bb.42:
	v_add_co_u32 v37, s18, 0x8800, v1
	v_add_co_ci_u32_e64 v38, s18, 0, v2, s18
	global_load_dwordx2 v[37:38], v[37:38], off
	s_waitcnt vmcnt(0)
	v_and_b32_e32 v38, 0x7fffffff, v38
.LBB16_43:
	s_or_b32 exec_lo, exec_lo, s19
	v_or_b32_e32 v39, 0x1200, v0
	v_cmp_gt_u32_e64 s18, s72, v39
                                        ; implicit-def: $vgpr39_vgpr40
	s_and_saveexec_b32 s20, s18
	s_cbranch_execz .LBB16_45
; %bb.44:
	v_add_co_u32 v39, s19, 0x9000, v1
	v_add_co_ci_u32_e64 v40, s19, 0, v2, s19
	global_load_dwordx2 v[39:40], v[39:40], off
	s_waitcnt vmcnt(0)
	v_and_b32_e32 v40, 0x7fffffff, v40
.LBB16_45:
	s_or_b32 exec_lo, exec_lo, s20
	v_or_b32_e32 v41, 0x1300, v0
	v_cmp_gt_u32_e64 s19, s72, v41
                                        ; implicit-def: $vgpr41_vgpr42
	s_and_saveexec_b32 s21, s19
	s_cbranch_execz .LBB16_47
; %bb.46:
	v_add_co_u32 v41, s20, 0x9800, v1
	v_add_co_ci_u32_e64 v42, s20, 0, v2, s20
	global_load_dwordx2 v[41:42], v[41:42], off
	s_waitcnt vmcnt(0)
	v_and_b32_e32 v42, 0x7fffffff, v42
.LBB16_47:
	s_or_b32 exec_lo, exec_lo, s21
	v_or_b32_e32 v43, 0x1400, v0
	v_cmp_gt_u32_e64 s20, s72, v43
                                        ; implicit-def: $vgpr43_vgpr44
	s_and_saveexec_b32 s22, s20
	s_cbranch_execz .LBB16_49
; %bb.48:
	v_add_co_u32 v43, s21, 0xa000, v1
	v_add_co_ci_u32_e64 v44, s21, 0, v2, s21
	global_load_dwordx2 v[43:44], v[43:44], off
	s_waitcnt vmcnt(0)
	v_and_b32_e32 v44, 0x7fffffff, v44
.LBB16_49:
	s_or_b32 exec_lo, exec_lo, s22
	v_or_b32_e32 v45, 0x1500, v0
	v_cmp_gt_u32_e64 s21, s72, v45
                                        ; implicit-def: $vgpr45_vgpr46
	s_and_saveexec_b32 s23, s21
	s_cbranch_execz .LBB16_51
; %bb.50:
	v_add_co_u32 v45, s22, 0xa800, v1
	v_add_co_ci_u32_e64 v46, s22, 0, v2, s22
	global_load_dwordx2 v[45:46], v[45:46], off
	s_waitcnt vmcnt(0)
	v_and_b32_e32 v46, 0x7fffffff, v46
.LBB16_51:
	s_or_b32 exec_lo, exec_lo, s23
	v_or_b32_e32 v47, 0x1600, v0
	v_cmp_gt_u32_e64 s22, s72, v47
                                        ; implicit-def: $vgpr47_vgpr48
	s_and_saveexec_b32 s24, s22
	s_cbranch_execz .LBB16_53
; %bb.52:
	v_add_co_u32 v47, s23, 0xb000, v1
	v_add_co_ci_u32_e64 v48, s23, 0, v2, s23
	global_load_dwordx2 v[47:48], v[47:48], off
	s_waitcnt vmcnt(0)
	v_and_b32_e32 v48, 0x7fffffff, v48
.LBB16_53:
	s_or_b32 exec_lo, exec_lo, s24
	v_or_b32_e32 v49, 0x1700, v0
	v_cmp_gt_u32_e64 s23, s72, v49
                                        ; implicit-def: $vgpr49_vgpr50
	s_and_saveexec_b32 s25, s23
	s_cbranch_execz .LBB16_55
; %bb.54:
	v_add_co_u32 v49, s24, 0xb800, v1
	v_add_co_ci_u32_e64 v50, s24, 0, v2, s24
	global_load_dwordx2 v[49:50], v[49:50], off
	s_waitcnt vmcnt(0)
	v_and_b32_e32 v50, 0x7fffffff, v50
.LBB16_55:
	s_or_b32 exec_lo, exec_lo, s25
	v_or_b32_e32 v51, 0x1800, v0
	v_cmp_gt_u32_e64 s24, s72, v51
                                        ; implicit-def: $vgpr51_vgpr52
	s_and_saveexec_b32 s26, s24
	s_cbranch_execz .LBB16_57
; %bb.56:
	v_add_co_u32 v51, s25, 0xc000, v1
	v_add_co_ci_u32_e64 v52, s25, 0, v2, s25
	global_load_dwordx2 v[51:52], v[51:52], off
	s_waitcnt vmcnt(0)
	v_and_b32_e32 v52, 0x7fffffff, v52
.LBB16_57:
	s_or_b32 exec_lo, exec_lo, s26
	v_or_b32_e32 v53, 0x1900, v0
	v_cmp_gt_u32_e64 s25, s72, v53
                                        ; implicit-def: $vgpr53_vgpr54
	s_and_saveexec_b32 s27, s25
	s_cbranch_execz .LBB16_59
; %bb.58:
	v_add_co_u32 v53, s26, 0xc800, v1
	v_add_co_ci_u32_e64 v54, s26, 0, v2, s26
	global_load_dwordx2 v[53:54], v[53:54], off
	s_waitcnt vmcnt(0)
	v_and_b32_e32 v54, 0x7fffffff, v54
.LBB16_59:
	s_or_b32 exec_lo, exec_lo, s27
	v_or_b32_e32 v55, 0x1a00, v0
	v_cmp_gt_u32_e64 s26, s72, v55
                                        ; implicit-def: $vgpr55_vgpr56
	s_and_saveexec_b32 s28, s26
	s_cbranch_execz .LBB16_61
; %bb.60:
	v_add_co_u32 v55, s27, 0xd000, v1
	v_add_co_ci_u32_e64 v56, s27, 0, v2, s27
	global_load_dwordx2 v[55:56], v[55:56], off
	s_waitcnt vmcnt(0)
	v_and_b32_e32 v56, 0x7fffffff, v56
.LBB16_61:
	s_or_b32 exec_lo, exec_lo, s28
	v_or_b32_e32 v57, 0x1b00, v0
	v_cmp_gt_u32_e64 s27, s72, v57
                                        ; implicit-def: $vgpr57_vgpr58
	s_and_saveexec_b32 s29, s27
	s_cbranch_execz .LBB16_63
; %bb.62:
	v_add_co_u32 v57, s28, 0xd800, v1
	v_add_co_ci_u32_e64 v58, s28, 0, v2, s28
	global_load_dwordx2 v[57:58], v[57:58], off
	s_waitcnt vmcnt(0)
	v_and_b32_e32 v58, 0x7fffffff, v58
.LBB16_63:
	s_or_b32 exec_lo, exec_lo, s29
	v_or_b32_e32 v59, 0x1c00, v0
	v_cmp_gt_u32_e64 s28, s72, v59
                                        ; implicit-def: $vgpr59_vgpr60
	s_and_saveexec_b32 s30, s28
	s_cbranch_execz .LBB16_65
; %bb.64:
	v_add_co_u32 v59, s29, 0xe000, v1
	v_add_co_ci_u32_e64 v60, s29, 0, v2, s29
	global_load_dwordx2 v[59:60], v[59:60], off
	s_waitcnt vmcnt(0)
	v_and_b32_e32 v60, 0x7fffffff, v60
.LBB16_65:
	s_or_b32 exec_lo, exec_lo, s30
	v_or_b32_e32 v61, 0x1d00, v0
	v_cmp_gt_u32_e64 s29, s72, v61
                                        ; implicit-def: $vgpr61_vgpr62
	s_and_saveexec_b32 s31, s29
	s_cbranch_execz .LBB16_67
; %bb.66:
	v_add_co_u32 v61, s30, 0xe800, v1
	v_add_co_ci_u32_e64 v62, s30, 0, v2, s30
	global_load_dwordx2 v[61:62], v[61:62], off
	s_waitcnt vmcnt(0)
	v_and_b32_e32 v62, 0x7fffffff, v62
.LBB16_67:
	s_or_b32 exec_lo, exec_lo, s31
	v_or_b32_e32 v63, 0x1e00, v0
	v_cmp_gt_u32_e64 s30, s72, v63
                                        ; implicit-def: $vgpr63_vgpr64
	s_and_saveexec_b32 s33, s30
	s_cbranch_execz .LBB16_69
; %bb.68:
	v_add_co_u32 v63, s31, 0xf000, v1
	v_add_co_ci_u32_e64 v64, s31, 0, v2, s31
	global_load_dwordx2 v[63:64], v[63:64], off
	s_waitcnt vmcnt(0)
	v_and_b32_e32 v64, 0x7fffffff, v64
.LBB16_69:
	s_or_b32 exec_lo, exec_lo, s33
	v_or_b32_e32 v65, 0x1f00, v0
	v_cmp_gt_u32_e64 s31, s72, v65
                                        ; implicit-def: $vgpr65_vgpr66
	s_and_saveexec_b32 s34, s31
	s_cbranch_execz .LBB16_71
; %bb.70:
	v_add_co_u32 v65, s33, 0xf800, v1
	v_add_co_ci_u32_e64 v66, s33, 0, v2, s33
	global_load_dwordx2 v[65:66], v[65:66], off
	s_waitcnt vmcnt(0)
	v_and_b32_e32 v66, 0x7fffffff, v66
.LBB16_71:
	s_or_b32 exec_lo, exec_lo, s34
	v_or_b32_e32 v67, 0x2000, v0
	v_cmp_gt_u32_e64 s33, s72, v67
                                        ; implicit-def: $vgpr67_vgpr68
	s_and_saveexec_b32 s35, s33
	s_cbranch_execz .LBB16_73
; %bb.72:
	v_add_co_u32 v67, s34, 0x10000, v1
	v_add_co_ci_u32_e64 v68, s34, 0, v2, s34
	global_load_dwordx2 v[67:68], v[67:68], off
	s_waitcnt vmcnt(0)
	v_and_b32_e32 v68, 0x7fffffff, v68
.LBB16_73:
	s_or_b32 exec_lo, exec_lo, s35
	v_or_b32_e32 v69, 0x2100, v0
	v_cmp_gt_u32_e64 s34, s72, v69
                                        ; implicit-def: $vgpr69_vgpr70
	s_and_saveexec_b32 s36, s34
	s_cbranch_execz .LBB16_75
; %bb.74:
	v_add_co_u32 v69, s35, 0x10800, v1
	v_add_co_ci_u32_e64 v70, s35, 0, v2, s35
	global_load_dwordx2 v[69:70], v[69:70], off
	s_waitcnt vmcnt(0)
	v_and_b32_e32 v70, 0x7fffffff, v70
.LBB16_75:
	s_or_b32 exec_lo, exec_lo, s36
	v_or_b32_e32 v71, 0x2200, v0
	v_cmp_gt_u32_e64 s35, s72, v71
                                        ; implicit-def: $vgpr71_vgpr72
	s_and_saveexec_b32 s37, s35
	s_cbranch_execz .LBB16_77
; %bb.76:
	v_add_co_u32 v71, s36, 0x11000, v1
	v_add_co_ci_u32_e64 v72, s36, 0, v2, s36
	global_load_dwordx2 v[71:72], v[71:72], off
	s_waitcnt vmcnt(0)
	v_and_b32_e32 v72, 0x7fffffff, v72
.LBB16_77:
	s_or_b32 exec_lo, exec_lo, s37
	v_or_b32_e32 v73, 0x2300, v0
	v_cmp_gt_u32_e64 s36, s72, v73
                                        ; implicit-def: $vgpr73_vgpr74
	s_and_saveexec_b32 s38, s36
	s_cbranch_execz .LBB16_79
; %bb.78:
	v_add_co_u32 v73, s37, 0x11800, v1
	v_add_co_ci_u32_e64 v74, s37, 0, v2, s37
	global_load_dwordx2 v[73:74], v[73:74], off
	s_waitcnt vmcnt(0)
	v_and_b32_e32 v74, 0x7fffffff, v74
.LBB16_79:
	s_or_b32 exec_lo, exec_lo, s38
	v_or_b32_e32 v75, 0x2400, v0
	v_cmp_gt_u32_e64 s37, s72, v75
                                        ; implicit-def: $vgpr75_vgpr76
	s_and_saveexec_b32 s39, s37
	s_cbranch_execz .LBB16_81
; %bb.80:
	v_add_co_u32 v75, s38, 0x12000, v1
	v_add_co_ci_u32_e64 v76, s38, 0, v2, s38
	global_load_dwordx2 v[75:76], v[75:76], off
	s_waitcnt vmcnt(0)
	v_and_b32_e32 v76, 0x7fffffff, v76
.LBB16_81:
	s_or_b32 exec_lo, exec_lo, s39
	v_or_b32_e32 v77, 0x2500, v0
	v_cmp_gt_u32_e64 s38, s72, v77
                                        ; implicit-def: $vgpr77_vgpr78
	s_and_saveexec_b32 s40, s38
	s_cbranch_execz .LBB16_83
; %bb.82:
	v_add_co_u32 v77, s39, 0x12800, v1
	v_add_co_ci_u32_e64 v78, s39, 0, v2, s39
	global_load_dwordx2 v[77:78], v[77:78], off
	s_waitcnt vmcnt(0)
	v_and_b32_e32 v78, 0x7fffffff, v78
.LBB16_83:
	s_or_b32 exec_lo, exec_lo, s40
	v_or_b32_e32 v79, 0x2600, v0
	v_cmp_gt_u32_e64 s39, s72, v79
                                        ; implicit-def: $vgpr79_vgpr80
	s_and_saveexec_b32 s41, s39
	s_cbranch_execz .LBB16_85
; %bb.84:
	v_add_co_u32 v79, s40, 0x13000, v1
	v_add_co_ci_u32_e64 v80, s40, 0, v2, s40
	global_load_dwordx2 v[79:80], v[79:80], off
	s_waitcnt vmcnt(0)
	v_and_b32_e32 v80, 0x7fffffff, v80
.LBB16_85:
	s_or_b32 exec_lo, exec_lo, s41
	v_or_b32_e32 v81, 0x2700, v0
	v_cmp_gt_u32_e64 s40, s72, v81
                                        ; implicit-def: $vgpr81_vgpr82
	s_and_saveexec_b32 s42, s40
	s_cbranch_execz .LBB16_87
; %bb.86:
	v_add_co_u32 v81, s41, 0x13800, v1
	v_add_co_ci_u32_e64 v82, s41, 0, v2, s41
	global_load_dwordx2 v[81:82], v[81:82], off
	s_waitcnt vmcnt(0)
	v_and_b32_e32 v82, 0x7fffffff, v82
.LBB16_87:
	s_or_b32 exec_lo, exec_lo, s42
	v_or_b32_e32 v83, 0x2800, v0
	v_cmp_gt_u32_e64 s41, s72, v83
                                        ; implicit-def: $vgpr83_vgpr84
	s_and_saveexec_b32 s43, s41
	s_cbranch_execz .LBB16_89
; %bb.88:
	v_add_co_u32 v83, s42, 0x14000, v1
	v_add_co_ci_u32_e64 v84, s42, 0, v2, s42
	global_load_dwordx2 v[83:84], v[83:84], off
	s_waitcnt vmcnt(0)
	v_and_b32_e32 v84, 0x7fffffff, v84
.LBB16_89:
	s_or_b32 exec_lo, exec_lo, s43
	v_or_b32_e32 v85, 0x2900, v0
	v_cmp_gt_u32_e64 s42, s72, v85
                                        ; implicit-def: $vgpr85_vgpr86
	s_and_saveexec_b32 s44, s42
	s_cbranch_execz .LBB16_91
; %bb.90:
	v_add_co_u32 v85, s43, 0x14800, v1
	v_add_co_ci_u32_e64 v86, s43, 0, v2, s43
	global_load_dwordx2 v[85:86], v[85:86], off
	s_waitcnt vmcnt(0)
	v_and_b32_e32 v86, 0x7fffffff, v86
.LBB16_91:
	s_or_b32 exec_lo, exec_lo, s44
	v_or_b32_e32 v87, 0x2a00, v0
	v_cmp_gt_u32_e64 s43, s72, v87
                                        ; implicit-def: $vgpr87_vgpr88
	s_and_saveexec_b32 s45, s43
	s_cbranch_execz .LBB16_93
; %bb.92:
	v_add_co_u32 v87, s44, 0x15000, v1
	v_add_co_ci_u32_e64 v88, s44, 0, v2, s44
	global_load_dwordx2 v[87:88], v[87:88], off
	s_waitcnt vmcnt(0)
	v_and_b32_e32 v88, 0x7fffffff, v88
.LBB16_93:
	s_or_b32 exec_lo, exec_lo, s45
	v_or_b32_e32 v89, 0x2b00, v0
	v_cmp_gt_u32_e64 s44, s72, v89
                                        ; implicit-def: $vgpr89_vgpr90
	s_and_saveexec_b32 s46, s44
	s_cbranch_execz .LBB16_95
; %bb.94:
	v_add_co_u32 v89, s45, 0x15800, v1
	v_add_co_ci_u32_e64 v90, s45, 0, v2, s45
	global_load_dwordx2 v[89:90], v[89:90], off
	s_waitcnt vmcnt(0)
	v_and_b32_e32 v90, 0x7fffffff, v90
.LBB16_95:
	s_or_b32 exec_lo, exec_lo, s46
	v_or_b32_e32 v91, 0x2c00, v0
	v_cmp_gt_u32_e64 s45, s72, v91
                                        ; implicit-def: $vgpr91_vgpr92
	s_and_saveexec_b32 s47, s45
	s_cbranch_execz .LBB16_97
; %bb.96:
	v_add_co_u32 v91, s46, 0x16000, v1
	v_add_co_ci_u32_e64 v92, s46, 0, v2, s46
	global_load_dwordx2 v[91:92], v[91:92], off
	s_waitcnt vmcnt(0)
	v_and_b32_e32 v92, 0x7fffffff, v92
.LBB16_97:
	s_or_b32 exec_lo, exec_lo, s47
	v_or_b32_e32 v93, 0x2d00, v0
	v_cmp_gt_u32_e64 s46, s72, v93
                                        ; implicit-def: $vgpr93_vgpr94
	s_and_saveexec_b32 s48, s46
	s_cbranch_execz .LBB16_99
; %bb.98:
	v_add_co_u32 v93, s47, 0x16800, v1
	v_add_co_ci_u32_e64 v94, s47, 0, v2, s47
	global_load_dwordx2 v[93:94], v[93:94], off
	s_waitcnt vmcnt(0)
	v_and_b32_e32 v94, 0x7fffffff, v94
.LBB16_99:
	s_or_b32 exec_lo, exec_lo, s48
	v_or_b32_e32 v95, 0x2e00, v0
	v_cmp_gt_u32_e64 s47, s72, v95
                                        ; implicit-def: $vgpr95_vgpr96
	s_and_saveexec_b32 s49, s47
	s_cbranch_execz .LBB16_101
; %bb.100:
	v_add_co_u32 v95, s48, 0x17000, v1
	v_add_co_ci_u32_e64 v96, s48, 0, v2, s48
	global_load_dwordx2 v[95:96], v[95:96], off
	s_waitcnt vmcnt(0)
	v_and_b32_e32 v96, 0x7fffffff, v96
.LBB16_101:
	s_or_b32 exec_lo, exec_lo, s49
	v_or_b32_e32 v97, 0x2f00, v0
	v_cmp_gt_u32_e64 s48, s72, v97
                                        ; implicit-def: $vgpr97_vgpr98
	s_and_saveexec_b32 s50, s48
	s_cbranch_execz .LBB16_103
; %bb.102:
	v_add_co_u32 v97, s49, 0x17800, v1
	v_add_co_ci_u32_e64 v98, s49, 0, v2, s49
	global_load_dwordx2 v[97:98], v[97:98], off
	s_waitcnt vmcnt(0)
	v_and_b32_e32 v98, 0x7fffffff, v98
.LBB16_103:
	s_or_b32 exec_lo, exec_lo, s50
	v_or_b32_e32 v99, 0x3000, v0
	v_cmp_gt_u32_e64 s49, s72, v99
                                        ; implicit-def: $vgpr99_vgpr100
	s_and_saveexec_b32 s51, s49
	s_cbranch_execz .LBB16_105
; %bb.104:
	v_add_co_u32 v99, s50, 0x18000, v1
	v_add_co_ci_u32_e64 v100, s50, 0, v2, s50
	global_load_dwordx2 v[99:100], v[99:100], off
	s_waitcnt vmcnt(0)
	v_and_b32_e32 v100, 0x7fffffff, v100
.LBB16_105:
	s_or_b32 exec_lo, exec_lo, s51
	v_or_b32_e32 v101, 0x3100, v0
	v_cmp_gt_u32_e64 s50, s72, v101
                                        ; implicit-def: $vgpr101_vgpr102
	s_and_saveexec_b32 s52, s50
	s_cbranch_execz .LBB16_107
; %bb.106:
	v_add_co_u32 v101, s51, 0x18800, v1
	v_add_co_ci_u32_e64 v102, s51, 0, v2, s51
	global_load_dwordx2 v[101:102], v[101:102], off
	s_waitcnt vmcnt(0)
	v_and_b32_e32 v102, 0x7fffffff, v102
.LBB16_107:
	s_or_b32 exec_lo, exec_lo, s52
	v_or_b32_e32 v103, 0x3200, v0
	v_cmp_gt_u32_e64 s51, s72, v103
                                        ; implicit-def: $vgpr103_vgpr104
	s_and_saveexec_b32 s53, s51
	s_cbranch_execz .LBB16_109
; %bb.108:
	v_add_co_u32 v103, s52, 0x19000, v1
	v_add_co_ci_u32_e64 v104, s52, 0, v2, s52
	global_load_dwordx2 v[103:104], v[103:104], off
	s_waitcnt vmcnt(0)
	v_and_b32_e32 v104, 0x7fffffff, v104
.LBB16_109:
	s_or_b32 exec_lo, exec_lo, s53
	v_or_b32_e32 v105, 0x3300, v0
	v_cmp_gt_u32_e64 s52, s72, v105
                                        ; implicit-def: $vgpr105_vgpr106
	s_and_saveexec_b32 s54, s52
	s_cbranch_execz .LBB16_111
; %bb.110:
	v_add_co_u32 v105, s53, 0x19800, v1
	v_add_co_ci_u32_e64 v106, s53, 0, v2, s53
	global_load_dwordx2 v[105:106], v[105:106], off
	s_waitcnt vmcnt(0)
	v_and_b32_e32 v106, 0x7fffffff, v106
.LBB16_111:
	s_or_b32 exec_lo, exec_lo, s54
	v_or_b32_e32 v107, 0x3400, v0
	v_cmp_gt_u32_e64 s53, s72, v107
                                        ; implicit-def: $vgpr107_vgpr108
	s_and_saveexec_b32 s55, s53
	s_cbranch_execz .LBB16_113
; %bb.112:
	v_add_co_u32 v107, s54, 0x1a000, v1
	v_add_co_ci_u32_e64 v108, s54, 0, v2, s54
	global_load_dwordx2 v[107:108], v[107:108], off
	s_waitcnt vmcnt(0)
	v_and_b32_e32 v108, 0x7fffffff, v108
.LBB16_113:
	s_or_b32 exec_lo, exec_lo, s55
	v_or_b32_e32 v109, 0x3500, v0
	v_cmp_gt_u32_e64 s54, s72, v109
                                        ; implicit-def: $vgpr109_vgpr110
	s_and_saveexec_b32 s56, s54
	s_cbranch_execz .LBB16_115
; %bb.114:
	v_add_co_u32 v109, s55, 0x1a800, v1
	v_add_co_ci_u32_e64 v110, s55, 0, v2, s55
	global_load_dwordx2 v[109:110], v[109:110], off
	s_waitcnt vmcnt(0)
	v_and_b32_e32 v110, 0x7fffffff, v110
.LBB16_115:
	s_or_b32 exec_lo, exec_lo, s56
	v_or_b32_e32 v111, 0x3600, v0
	v_cmp_gt_u32_e64 s55, s72, v111
                                        ; implicit-def: $vgpr111_vgpr112
	s_and_saveexec_b32 s57, s55
	s_cbranch_execz .LBB16_117
; %bb.116:
	v_add_co_u32 v111, s56, 0x1b000, v1
	v_add_co_ci_u32_e64 v112, s56, 0, v2, s56
	global_load_dwordx2 v[111:112], v[111:112], off
	s_waitcnt vmcnt(0)
	v_and_b32_e32 v112, 0x7fffffff, v112
.LBB16_117:
	s_or_b32 exec_lo, exec_lo, s57
	v_or_b32_e32 v113, 0x3700, v0
	v_cmp_gt_u32_e64 s56, s72, v113
                                        ; implicit-def: $vgpr113_vgpr114
	s_and_saveexec_b32 s58, s56
	s_cbranch_execz .LBB16_119
; %bb.118:
	v_add_co_u32 v113, s57, 0x1b800, v1
	v_add_co_ci_u32_e64 v114, s57, 0, v2, s57
	global_load_dwordx2 v[113:114], v[113:114], off
	s_waitcnt vmcnt(0)
	v_and_b32_e32 v114, 0x7fffffff, v114
.LBB16_119:
	s_or_b32 exec_lo, exec_lo, s58
	v_or_b32_e32 v115, 0x3800, v0
	v_cmp_gt_u32_e64 s57, s72, v115
                                        ; implicit-def: $vgpr115_vgpr116
	s_and_saveexec_b32 s59, s57
	s_cbranch_execz .LBB16_121
; %bb.120:
	v_add_co_u32 v115, s58, 0x1c000, v1
	v_add_co_ci_u32_e64 v116, s58, 0, v2, s58
	global_load_dwordx2 v[115:116], v[115:116], off
	s_waitcnt vmcnt(0)
	v_and_b32_e32 v116, 0x7fffffff, v116
.LBB16_121:
	s_or_b32 exec_lo, exec_lo, s59
	v_or_b32_e32 v117, 0x3900, v0
	v_cmp_gt_u32_e64 s58, s72, v117
                                        ; implicit-def: $vgpr117_vgpr118
	s_and_saveexec_b32 s60, s58
	s_cbranch_execz .LBB16_123
; %bb.122:
	v_add_co_u32 v117, s59, 0x1c800, v1
	v_add_co_ci_u32_e64 v118, s59, 0, v2, s59
	global_load_dwordx2 v[117:118], v[117:118], off
	s_waitcnt vmcnt(0)
	v_and_b32_e32 v118, 0x7fffffff, v118
.LBB16_123:
	s_or_b32 exec_lo, exec_lo, s60
	v_or_b32_e32 v119, 0x3a00, v0
	v_cmp_gt_u32_e64 s59, s72, v119
                                        ; implicit-def: $vgpr119_vgpr120
	s_and_saveexec_b32 s61, s59
	s_cbranch_execz .LBB16_125
; %bb.124:
	v_add_co_u32 v119, s60, 0x1d000, v1
	v_add_co_ci_u32_e64 v120, s60, 0, v2, s60
	global_load_dwordx2 v[119:120], v[119:120], off
	s_waitcnt vmcnt(0)
	v_and_b32_e32 v120, 0x7fffffff, v120
.LBB16_125:
	s_or_b32 exec_lo, exec_lo, s61
	v_or_b32_e32 v121, 0x3b00, v0
	v_cmp_gt_u32_e64 s60, s72, v121
                                        ; implicit-def: $vgpr121_vgpr122
	s_and_saveexec_b32 s62, s60
	s_cbranch_execz .LBB16_127
; %bb.126:
	v_add_co_u32 v121, s61, 0x1d800, v1
	v_add_co_ci_u32_e64 v122, s61, 0, v2, s61
	global_load_dwordx2 v[121:122], v[121:122], off
	s_waitcnt vmcnt(0)
	v_and_b32_e32 v122, 0x7fffffff, v122
.LBB16_127:
	s_or_b32 exec_lo, exec_lo, s62
	v_or_b32_e32 v123, 0x3c00, v0
	v_cmp_gt_u32_e64 s61, s72, v123
                                        ; implicit-def: $vgpr123_vgpr124
	s_and_saveexec_b32 s63, s61
	s_cbranch_execz .LBB16_129
; %bb.128:
	v_add_co_u32 v123, s62, 0x1e000, v1
	v_add_co_ci_u32_e64 v124, s62, 0, v2, s62
	global_load_dwordx2 v[123:124], v[123:124], off
	s_waitcnt vmcnt(0)
	v_and_b32_e32 v124, 0x7fffffff, v124
.LBB16_129:
	s_or_b32 exec_lo, exec_lo, s63
	v_or_b32_e32 v125, 0x3d00, v0
	v_cmp_gt_u32_e64 s62, s72, v125
                                        ; implicit-def: $vgpr125_vgpr126
	s_and_saveexec_b32 s64, s62
	s_cbranch_execz .LBB16_131
; %bb.130:
	v_add_co_u32 v125, s63, 0x1e800, v1
	v_add_co_ci_u32_e64 v126, s63, 0, v2, s63
	global_load_dwordx2 v[125:126], v[125:126], off
	s_waitcnt vmcnt(0)
	v_and_b32_e32 v126, 0x7fffffff, v126
.LBB16_131:
	s_or_b32 exec_lo, exec_lo, s64
	v_or_b32_e32 v127, 0x3e00, v0
	v_cmp_gt_u32_e64 s63, s72, v127
                                        ; implicit-def: $vgpr127_vgpr128
	s_and_saveexec_b32 s65, s63
	s_cbranch_execz .LBB16_133
; %bb.132:
	v_add_co_u32 v127, s64, 0x1f000, v1
	v_add_co_ci_u32_e64 v128, s64, 0, v2, s64
	global_load_dwordx2 v[127:128], v[127:128], off
	s_waitcnt vmcnt(0)
	v_and_b32_e32 v128, 0x7fffffff, v128
.LBB16_133:
	s_or_b32 exec_lo, exec_lo, s65
	v_or_b32_e32 v129, 0x3f00, v0
	v_cmp_gt_u32_e64 s64, s72, v129
                                        ; implicit-def: $vgpr129_vgpr130
	s_and_saveexec_b32 s73, s64
	s_cbranch_execz .LBB16_135
; %bb.134:
	v_add_co_u32 v1, s65, 0x1f800, v1
	v_add_co_ci_u32_e64 v2, s65, 0, v2, s65
	global_load_dwordx2 v[129:130], v[1:2], off
	s_waitcnt vmcnt(0)
	v_and_b32_e32 v130, 0x7fffffff, v130
.LBB16_135:
	s_or_b32 exec_lo, exec_lo, s73
	v_add_f64 v[1:2], v[3:4], v[5:6]
	v_add_nc_u32_e32 v6, 1, v131
	v_cndmask_b32_e32 v2, v4, v2, vcc_lo
	v_cndmask_b32_e32 v1, v3, v1, vcc_lo
	v_cmp_ne_u32_e32 vcc_lo, 31, v131
	v_add_f64 v[3:4], v[1:2], v[7:8]
	v_add_co_ci_u32_e32 v5, vcc_lo, 0, v131, vcc_lo
	v_lshlrev_b32_e32 v5, 2, v5
	v_cndmask_b32_e64 v2, v2, v4, s0
	v_cndmask_b32_e64 v1, v1, v3, s0
	s_min_u32 s0, s72, 0x100
	v_add_f64 v[3:4], v[1:2], v[9:10]
	v_cndmask_b32_e64 v2, v2, v4, s1
	v_cndmask_b32_e64 v1, v1, v3, s1
	s_mov_b32 s1, exec_lo
	v_add_f64 v[3:4], v[1:2], v[11:12]
	v_cndmask_b32_e64 v2, v2, v4, s2
	v_cndmask_b32_e64 v1, v1, v3, s2
	v_add_f64 v[3:4], v[1:2], v[13:14]
	v_cndmask_b32_e64 v2, v2, v4, s3
	v_cndmask_b32_e64 v1, v1, v3, s3
	;; [unrolled: 3-line block ×60, first 2 shown]
	ds_bpermute_b32 v1, v5, v3
	ds_bpermute_b32 v2, v5, v4
	v_and_b32_e32 v5, 0xe0, v0
	v_sub_nc_u32_e64 v5, s0, v5 clamp
	v_cmpx_lt_u32_e64 v6, v5
	s_cbranch_execz .LBB16_137
; %bb.136:
	s_waitcnt lgkmcnt(0)
	v_add_f64 v[3:4], v[3:4], v[1:2]
.LBB16_137:
	s_or_b32 exec_lo, exec_lo, s1
	v_cmp_gt_u32_e32 vcc_lo, 30, v131
	v_add_nc_u32_e32 v6, 2, v131
	s_mov_b32 s1, exec_lo
	s_waitcnt lgkmcnt(1)
	v_cndmask_b32_e64 v1, 0, 1, vcc_lo
	v_lshlrev_b32_e32 v1, 1, v1
	s_waitcnt lgkmcnt(0)
	v_add_lshl_u32 v2, v1, v131, 2
	ds_bpermute_b32 v1, v2, v3
	ds_bpermute_b32 v2, v2, v4
	v_cmpx_lt_u32_e64 v6, v5
	s_cbranch_execz .LBB16_139
; %bb.138:
	s_waitcnt lgkmcnt(0)
	v_add_f64 v[3:4], v[3:4], v[1:2]
.LBB16_139:
	s_or_b32 exec_lo, exec_lo, s1
	v_cmp_gt_u32_e32 vcc_lo, 28, v131
	v_add_nc_u32_e32 v6, 4, v131
	s_mov_b32 s1, exec_lo
	s_waitcnt lgkmcnt(1)
	v_cndmask_b32_e64 v1, 0, 1, vcc_lo
	v_lshlrev_b32_e32 v1, 2, v1
	s_waitcnt lgkmcnt(0)
	v_add_lshl_u32 v2, v1, v131, 2
	ds_bpermute_b32 v1, v2, v3
	ds_bpermute_b32 v2, v2, v4
	;; [unrolled: 17-line block ×4, first 2 shown]
	v_cmpx_lt_u32_e64 v6, v5
	s_cbranch_execz .LBB16_145
; %bb.144:
	s_waitcnt lgkmcnt(0)
	v_add_f64 v[3:4], v[3:4], v[1:2]
.LBB16_145:
	s_or_b32 exec_lo, exec_lo, s1
	s_mov_b32 s1, exec_lo
	v_cmpx_eq_u32_e32 0, v131
	s_cbranch_execz .LBB16_147
; %bb.146:
	s_waitcnt lgkmcnt(1)
	v_lshrrev_b32_e32 v1, 2, v0
	v_and_b32_e32 v1, 56, v1
	ds_write_b64 v1, v[3:4] offset:64
.LBB16_147:
	s_or_b32 exec_lo, exec_lo, s1
	s_mov_b32 s1, exec_lo
	s_waitcnt lgkmcnt(0)
	s_barrier
	buffer_gl0_inv
	v_cmpx_gt_u32_e32 8, v0
	s_cbranch_execz .LBB16_155
; %bb.148:
	v_lshlrev_b32_e32 v1, 3, v131
	v_and_b32_e32 v5, 7, v131
	s_add_i32 s0, s0, 31
	s_mov_b32 s2, exec_lo
	s_lshr_b32 s0, s0, 5
	ds_read_b64 v[3:4], v1 offset:64
	v_cmp_ne_u32_e32 vcc_lo, 7, v5
	v_add_nc_u32_e32 v6, 1, v5
	v_add_co_ci_u32_e32 v1, vcc_lo, 0, v131, vcc_lo
	v_lshlrev_b32_e32 v2, 2, v1
	s_waitcnt lgkmcnt(0)
	ds_bpermute_b32 v1, v2, v3
	ds_bpermute_b32 v2, v2, v4
	v_cmpx_gt_u32_e64 s0, v6
	s_cbranch_execz .LBB16_150
; %bb.149:
	s_waitcnt lgkmcnt(0)
	v_add_f64 v[3:4], v[3:4], v[1:2]
.LBB16_150:
	s_or_b32 exec_lo, exec_lo, s2
	v_cmp_gt_u32_e32 vcc_lo, 6, v5
	v_add_nc_u32_e32 v6, 2, v5
	s_mov_b32 s2, exec_lo
	s_waitcnt lgkmcnt(1)
	v_cndmask_b32_e64 v1, 0, 1, vcc_lo
	v_lshlrev_b32_e32 v1, 1, v1
	s_waitcnt lgkmcnt(0)
	v_add_lshl_u32 v2, v1, v131, 2
	ds_bpermute_b32 v1, v2, v3
	ds_bpermute_b32 v2, v2, v4
	v_cmpx_gt_u32_e64 s0, v6
	s_cbranch_execz .LBB16_152
; %bb.151:
	s_waitcnt lgkmcnt(0)
	v_add_f64 v[3:4], v[3:4], v[1:2]
.LBB16_152:
	s_or_b32 exec_lo, exec_lo, s2
	v_cmp_gt_u32_e32 vcc_lo, 4, v5
	v_add_nc_u32_e32 v5, 4, v5
	s_waitcnt lgkmcnt(1)
	v_cndmask_b32_e64 v1, 0, 1, vcc_lo
	v_cmp_gt_u32_e32 vcc_lo, s0, v5
	v_lshlrev_b32_e32 v1, 2, v1
	s_waitcnt lgkmcnt(0)
	v_add_lshl_u32 v2, v1, v131, 2
	ds_bpermute_b32 v1, v2, v3
	ds_bpermute_b32 v2, v2, v4
	s_and_saveexec_b32 s0, vcc_lo
	s_cbranch_execz .LBB16_154
; %bb.153:
	s_waitcnt lgkmcnt(0)
	v_add_f64 v[3:4], v[3:4], v[1:2]
.LBB16_154:
	s_or_b32 exec_lo, exec_lo, s0
.LBB16_155:
	s_or_b32 exec_lo, exec_lo, s1
.LBB16_156:
	s_mov_b32 s0, exec_lo
	v_cmpx_eq_u32_e32 0, v0
	s_cbranch_execz .LBB16_158
; %bb.157:
	s_waitcnt lgkmcnt(1)
	v_add_f64 v[0:1], v[3:4], s[66:67]
	s_lshl_b64 s[0:1], s[6:7], 3
	s_waitcnt lgkmcnt(0)
	v_mov_b32_e32 v2, 0
	s_add_u32 s0, s70, s0
	s_addc_u32 s1, s71, s1
	s_cmp_eq_u64 s[68:69], 0
	s_cselect_b32 s2, -1, 0
	v_cndmask_b32_e64 v1, v1, s67, s2
	v_cndmask_b32_e64 v0, v0, s66, s2
	global_store_dwordx2 v2, v[0:1], s[0:1]
.LBB16_158:
	s_endpgm
	.section	.rodata,"a",@progbits
	.p2align	6, 0x0
	.amdhsa_kernel _ZN7rocprim6detail19block_reduce_kernelILb1ELb1ELj8ENS0_21wrapped_reduce_configINS_14default_configEdEEdN6thrust11hip_rocprim26transform_input_iterator_tIdNS5_6detail15normal_iteratorINS5_10device_ptrIdEEEEZ4mainEUldE_EEPddNS5_4plusIdEEEEvT4_mT5_T6_T7_
		.amdhsa_group_segment_fixed_size 128
		.amdhsa_private_segment_fixed_size 0
		.amdhsa_kernarg_size 44
		.amdhsa_user_sgpr_count 6
		.amdhsa_user_sgpr_private_segment_buffer 1
		.amdhsa_user_sgpr_dispatch_ptr 0
		.amdhsa_user_sgpr_queue_ptr 0
		.amdhsa_user_sgpr_kernarg_segment_ptr 1
		.amdhsa_user_sgpr_dispatch_id 0
		.amdhsa_user_sgpr_flat_scratch_init 0
		.amdhsa_user_sgpr_private_segment_size 0
		.amdhsa_wavefront_size32 1
		.amdhsa_uses_dynamic_stack 0
		.amdhsa_system_sgpr_private_segment_wavefront_offset 0
		.amdhsa_system_sgpr_workgroup_id_x 1
		.amdhsa_system_sgpr_workgroup_id_y 0
		.amdhsa_system_sgpr_workgroup_id_z 0
		.amdhsa_system_sgpr_workgroup_info 0
		.amdhsa_system_vgpr_workitem_id 0
		.amdhsa_next_free_vgpr 132
		.amdhsa_next_free_sgpr 74
		.amdhsa_reserve_vcc 1
		.amdhsa_reserve_flat_scratch 0
		.amdhsa_float_round_mode_32 0
		.amdhsa_float_round_mode_16_64 0
		.amdhsa_float_denorm_mode_32 3
		.amdhsa_float_denorm_mode_16_64 3
		.amdhsa_dx10_clamp 1
		.amdhsa_ieee_mode 1
		.amdhsa_fp16_overflow 0
		.amdhsa_workgroup_processor_mode 1
		.amdhsa_memory_ordered 1
		.amdhsa_forward_progress 0
		.amdhsa_shared_vgpr_count 0
		.amdhsa_exception_fp_ieee_invalid_op 0
		.amdhsa_exception_fp_denorm_src 0
		.amdhsa_exception_fp_ieee_div_zero 0
		.amdhsa_exception_fp_ieee_overflow 0
		.amdhsa_exception_fp_ieee_underflow 0
		.amdhsa_exception_fp_ieee_inexact 0
		.amdhsa_exception_int_div_zero 0
	.end_amdhsa_kernel
	.section	.text._ZN7rocprim6detail19block_reduce_kernelILb1ELb1ELj8ENS0_21wrapped_reduce_configINS_14default_configEdEEdN6thrust11hip_rocprim26transform_input_iterator_tIdNS5_6detail15normal_iteratorINS5_10device_ptrIdEEEEZ4mainEUldE_EEPddNS5_4plusIdEEEEvT4_mT5_T6_T7_,"axG",@progbits,_ZN7rocprim6detail19block_reduce_kernelILb1ELb1ELj8ENS0_21wrapped_reduce_configINS_14default_configEdEEdN6thrust11hip_rocprim26transform_input_iterator_tIdNS5_6detail15normal_iteratorINS5_10device_ptrIdEEEEZ4mainEUldE_EEPddNS5_4plusIdEEEEvT4_mT5_T6_T7_,comdat
.Lfunc_end16:
	.size	_ZN7rocprim6detail19block_reduce_kernelILb1ELb1ELj8ENS0_21wrapped_reduce_configINS_14default_configEdEEdN6thrust11hip_rocprim26transform_input_iterator_tIdNS5_6detail15normal_iteratorINS5_10device_ptrIdEEEEZ4mainEUldE_EEPddNS5_4plusIdEEEEvT4_mT5_T6_T7_, .Lfunc_end16-_ZN7rocprim6detail19block_reduce_kernelILb1ELb1ELj8ENS0_21wrapped_reduce_configINS_14default_configEdEEdN6thrust11hip_rocprim26transform_input_iterator_tIdNS5_6detail15normal_iteratorINS5_10device_ptrIdEEEEZ4mainEUldE_EEPddNS5_4plusIdEEEEvT4_mT5_T6_T7_
                                        ; -- End function
	.section	.AMDGPU.csdata,"",@progbits
; Kernel info:
; codeLenInByte = 8876
; NumSgprs: 76
; NumVgprs: 132
; ScratchSize: 0
; MemoryBound: 1
; FloatMode: 240
; IeeeMode: 1
; LDSByteSize: 128 bytes/workgroup (compile time only)
; SGPRBlocks: 9
; VGPRBlocks: 16
; NumSGPRsForWavesPerEU: 76
; NumVGPRsForWavesPerEU: 132
; Occupancy: 7
; WaveLimiterHint : 1
; COMPUTE_PGM_RSRC2:SCRATCH_EN: 0
; COMPUTE_PGM_RSRC2:USER_SGPR: 6
; COMPUTE_PGM_RSRC2:TRAP_HANDLER: 0
; COMPUTE_PGM_RSRC2:TGID_X_EN: 1
; COMPUTE_PGM_RSRC2:TGID_Y_EN: 0
; COMPUTE_PGM_RSRC2:TGID_Z_EN: 0
; COMPUTE_PGM_RSRC2:TIDIG_COMP_CNT: 0
	.section	.text._ZN7rocprim6detail19block_reduce_kernelILb1ELb1ELj16ENS0_21wrapped_reduce_configINS_14default_configEdEEdN6thrust11hip_rocprim26transform_input_iterator_tIdNS5_6detail15normal_iteratorINS5_10device_ptrIdEEEEZ4mainEUldE_EEPddNS5_4plusIdEEEEvT4_mT5_T6_T7_,"axG",@progbits,_ZN7rocprim6detail19block_reduce_kernelILb1ELb1ELj16ENS0_21wrapped_reduce_configINS_14default_configEdEEdN6thrust11hip_rocprim26transform_input_iterator_tIdNS5_6detail15normal_iteratorINS5_10device_ptrIdEEEEZ4mainEUldE_EEPddNS5_4plusIdEEEEvT4_mT5_T6_T7_,comdat
	.globl	_ZN7rocprim6detail19block_reduce_kernelILb1ELb1ELj16ENS0_21wrapped_reduce_configINS_14default_configEdEEdN6thrust11hip_rocprim26transform_input_iterator_tIdNS5_6detail15normal_iteratorINS5_10device_ptrIdEEEEZ4mainEUldE_EEPddNS5_4plusIdEEEEvT4_mT5_T6_T7_ ; -- Begin function _ZN7rocprim6detail19block_reduce_kernelILb1ELb1ELj16ENS0_21wrapped_reduce_configINS_14default_configEdEEdN6thrust11hip_rocprim26transform_input_iterator_tIdNS5_6detail15normal_iteratorINS5_10device_ptrIdEEEEZ4mainEUldE_EEPddNS5_4plusIdEEEEvT4_mT5_T6_T7_
	.p2align	8
	.type	_ZN7rocprim6detail19block_reduce_kernelILb1ELb1ELj16ENS0_21wrapped_reduce_configINS_14default_configEdEEdN6thrust11hip_rocprim26transform_input_iterator_tIdNS5_6detail15normal_iteratorINS5_10device_ptrIdEEEEZ4mainEUldE_EEPddNS5_4plusIdEEEEvT4_mT5_T6_T7_,@function
_ZN7rocprim6detail19block_reduce_kernelILb1ELb1ELj16ENS0_21wrapped_reduce_configINS_14default_configEdEEdN6thrust11hip_rocprim26transform_input_iterator_tIdNS5_6detail15normal_iteratorINS5_10device_ptrIdEEEEZ4mainEUldE_EEPddNS5_4plusIdEEEEvT4_mT5_T6_T7_: ; @_ZN7rocprim6detail19block_reduce_kernelILb1ELb1ELj16ENS0_21wrapped_reduce_configINS_14default_configEdEEdN6thrust11hip_rocprim26transform_input_iterator_tIdNS5_6detail15normal_iteratorINS5_10device_ptrIdEEEEZ4mainEUldE_EEPddNS5_4plusIdEEEEvT4_mT5_T6_T7_
; %bb.0:
	s_mov_b64 s[102:103], s[2:3]
	s_mov_b64 s[100:101], s[0:1]
	s_clause 0x2
	s_load_dwordx4 s[8:11], s[4:5], 0x10
	s_load_dwordx2 s[2:3], s[4:5], 0x0
	s_load_dwordx2 s[0:1], s[4:5], 0x20
                                        ; implicit-def: $vgpr254 : SGPR spill to VGPR lane
	s_add_u32 s100, s100, s7
	s_addc_u32 s101, s101, 0
	v_lshlrev_b32_e32 v1, 3, v0
	s_waitcnt lgkmcnt(0)
	v_writelane_b32 v254, s0, 0
	v_writelane_b32 v254, s1, 1
	s_mov_b32 s1, 0
	s_lshl_b32 s0, s6, 15
	s_mov_b32 s7, s1
	s_lshl_b64 s[4:5], s[0:1], 3
	v_writelane_b32 v254, s8, 2
	v_writelane_b32 v254, s9, 3
	;; [unrolled: 1-line block ×4, first 2 shown]
	s_lshr_b64 s[8:9], s[8:9], 15
	s_add_u32 s1, s2, s4
	s_addc_u32 s2, s3, s5
	v_add_co_u32 v1, s1, s1, v1
	v_add_co_ci_u32_e64 v2, null, s2, 0, s1
	s_cmp_lg_u64 s[8:9], s[6:7]
	s_cbranch_scc0 .LBB17_6
; %bb.1:
	v_add_co_u32 v3, vcc_lo, v1, 0x1000
	v_add_co_ci_u32_e32 v4, vcc_lo, 0, v2, vcc_lo
	v_add_co_u32 v9, vcc_lo, v1, 0x2000
	s_clause 0x2
	global_load_dwordx2 v[5:6], v[1:2], off
	global_load_dwordx2 v[7:8], v[3:4], off offset:-2048
	global_load_dwordx2 v[3:4], v[3:4], off
	v_add_co_ci_u32_e32 v10, vcc_lo, 0, v2, vcc_lo
	v_add_co_u32 v13, vcc_lo, v1, 0x3000
	s_clause 0x1
	global_load_dwordx2 v[11:12], v[9:10], off offset:-2048
	global_load_dwordx2 v[9:10], v[9:10], off
	v_add_co_ci_u32_e32 v14, vcc_lo, 0, v2, vcc_lo
	s_clause 0x1
	global_load_dwordx2 v[15:16], v[13:14], off offset:-2048
	global_load_dwordx2 v[13:14], v[13:14], off
	v_add_co_u32 v17, vcc_lo, v1, 0x4000
	v_add_co_ci_u32_e32 v18, vcc_lo, 0, v2, vcc_lo
	s_clause 0x1
	global_load_dwordx2 v[19:20], v[17:18], off offset:-2048
	global_load_dwordx2 v[17:18], v[17:18], off
	v_add_co_u32 v21, vcc_lo, v1, 0x5000
	v_add_co_ci_u32_e32 v22, vcc_lo, 0, v2, vcc_lo
	s_clause 0x1
	global_load_dwordx2 v[23:24], v[21:22], off offset:-2048
	global_load_dwordx2 v[21:22], v[21:22], off
	v_add_co_u32 v25, vcc_lo, v1, 0x6000
	v_add_co_ci_u32_e32 v26, vcc_lo, 0, v2, vcc_lo
	s_clause 0x1
	global_load_dwordx2 v[27:28], v[25:26], off offset:-2048
	global_load_dwordx2 v[25:26], v[25:26], off
	v_add_co_u32 v29, vcc_lo, v1, 0x7000
	v_add_co_ci_u32_e32 v30, vcc_lo, 0, v2, vcc_lo
	s_clause 0x1
	global_load_dwordx2 v[31:32], v[29:30], off offset:-2048
	global_load_dwordx2 v[29:30], v[29:30], off
	v_add_co_u32 v33, vcc_lo, v1, 0x8000
	v_add_co_ci_u32_e32 v34, vcc_lo, 0, v2, vcc_lo
	v_add_co_u32 v37, vcc_lo, 0x3f800, v1
	v_add_co_ci_u32_e32 v38, vcc_lo, 0, v2, vcc_lo
	global_load_dwordx2 v[35:36], v[33:34], off offset:-2048
	s_mov_b32 s1, exec_lo
	global_load_dwordx2 v[37:38], v[37:38], off
	s_waitcnt vmcnt(15)
	v_add_f64 v[5:6], |v[5:6]|, |v[7:8]|
	global_load_dwordx2 v[7:8], v[33:34], off
	s_waitcnt vmcnt(15)
	v_add_f64 v[3:4], v[5:6], |v[3:4]|
	v_add_co_u32 v5, vcc_lo, v1, 0x9000
	v_add_co_ci_u32_e32 v6, vcc_lo, 0, v2, vcc_lo
	global_load_dwordx2 v[33:34], v[5:6], off offset:-2048
	s_waitcnt vmcnt(15)
	v_add_f64 v[3:4], v[3:4], |v[11:12]|
	s_waitcnt vmcnt(14)
	v_add_f64 v[3:4], v[3:4], |v[9:10]|
	v_add_co_u32 v9, vcc_lo, v1, 0xa000
	v_add_co_ci_u32_e32 v10, vcc_lo, 0, v2, vcc_lo
	global_load_dwordx2 v[11:12], v[9:10], off offset:-2048
	s_waitcnt vmcnt(14)
	v_add_f64 v[3:4], v[3:4], |v[15:16]|
	s_waitcnt vmcnt(13)
	v_add_f64 v[3:4], v[3:4], |v[13:14]|
	v_add_co_u32 v13, vcc_lo, v1, 0xb000
	v_add_co_ci_u32_e32 v14, vcc_lo, 0, v2, vcc_lo
	s_clause 0x1
	global_load_dwordx2 v[15:16], v[13:14], off offset:-2048
	global_load_dwordx2 v[13:14], v[13:14], off
	s_waitcnt vmcnt(14)
	v_add_f64 v[3:4], v[3:4], |v[19:20]|
	s_waitcnt vmcnt(13)
	v_add_f64 v[3:4], v[3:4], |v[17:18]|
	v_add_co_u32 v17, vcc_lo, v1, 0xc000
	v_add_co_ci_u32_e32 v18, vcc_lo, 0, v2, vcc_lo
	global_load_dwordx2 v[19:20], v[17:18], off offset:-2048
	s_waitcnt vmcnt(13)
	v_add_f64 v[3:4], v[3:4], |v[23:24]|
	s_waitcnt vmcnt(12)
	v_add_f64 v[3:4], v[3:4], |v[21:22]|
	v_add_co_u32 v21, vcc_lo, v1, 0xd000
	v_add_co_ci_u32_e32 v22, vcc_lo, 0, v2, vcc_lo
	global_load_dwordx2 v[23:24], v[21:22], off offset:-2048
	;; [unrolled: 7-line block ×3, first 2 shown]
	s_waitcnt vmcnt(11)
	v_add_f64 v[3:4], v[3:4], |v[31:32]|
	s_waitcnt vmcnt(10)
	v_add_f64 v[3:4], v[3:4], |v[29:30]|
	v_add_co_u32 v29, vcc_lo, v1, 0xf000
	v_add_co_ci_u32_e32 v30, vcc_lo, 0, v2, vcc_lo
	s_clause 0x4
	global_load_dwordx2 v[31:32], v[29:30], off offset:-2048
	global_load_dwordx2 v[17:18], v[17:18], off
	global_load_dwordx2 v[21:22], v[21:22], off
	;; [unrolled: 1-line block ×4, first 2 shown]
	s_waitcnt vmcnt(14)
	v_add_f64 v[3:4], v[3:4], |v[35:36]|
	s_waitcnt vmcnt(12)
	v_add_f64 v[3:4], v[3:4], |v[7:8]|
	v_add_co_u32 v7, vcc_lo, v1, 0x10000
	v_add_co_ci_u32_e32 v8, vcc_lo, 0, v2, vcc_lo
	s_clause 0x3
	global_load_dwordx2 v[35:36], v[7:8], off offset:-2048
	global_load_dwordx2 v[5:6], v[5:6], off
	global_load_dwordx2 v[7:8], v[7:8], off
	;; [unrolled: 1-line block ×3, first 2 shown]
	s_waitcnt vmcnt(15)
	v_add_f64 v[3:4], v[3:4], |v[33:34]|
	s_waitcnt vmcnt(2)
	v_add_f64 v[3:4], v[3:4], |v[5:6]|
	v_add_co_u32 v5, vcc_lo, v1, 0x11000
	v_add_co_ci_u32_e32 v6, vcc_lo, 0, v2, vcc_lo
	global_load_dwordx2 v[33:34], v[5:6], off offset:-2048
	v_add_f64 v[3:4], v[3:4], |v[11:12]|
	s_waitcnt vmcnt(1)
	v_add_f64 v[3:4], v[3:4], |v[9:10]|
	v_add_co_u32 v9, vcc_lo, v1, 0x12000
	v_add_co_ci_u32_e32 v10, vcc_lo, 0, v2, vcc_lo
	global_load_dwordx2 v[11:12], v[9:10], off offset:-2048
	v_add_f64 v[3:4], v[3:4], |v[15:16]|
	v_add_f64 v[3:4], v[3:4], |v[13:14]|
	v_add_co_u32 v13, vcc_lo, v1, 0x13000
	v_add_co_ci_u32_e32 v14, vcc_lo, 0, v2, vcc_lo
	s_clause 0x1
	global_load_dwordx2 v[15:16], v[13:14], off offset:-2048
	global_load_dwordx2 v[13:14], v[13:14], off
	v_add_f64 v[3:4], v[3:4], |v[19:20]|
	v_add_f64 v[3:4], v[3:4], |v[17:18]|
	v_add_co_u32 v17, vcc_lo, v1, 0x14000
	v_add_co_ci_u32_e32 v18, vcc_lo, 0, v2, vcc_lo
	global_load_dwordx2 v[19:20], v[17:18], off offset:-2048
	v_add_f64 v[3:4], v[3:4], |v[23:24]|
	v_add_f64 v[3:4], v[3:4], |v[21:22]|
	v_add_co_u32 v21, vcc_lo, v1, 0x15000
	v_add_co_ci_u32_e32 v22, vcc_lo, 0, v2, vcc_lo
	global_load_dwordx2 v[23:24], v[21:22], off offset:-2048
	v_add_f64 v[3:4], v[3:4], |v[27:28]|
	v_add_f64 v[3:4], |v[25:26]|, v[3:4]
	v_add_co_u32 v25, vcc_lo, v1, 0x16000
	v_add_co_ci_u32_e32 v26, vcc_lo, 0, v2, vcc_lo
	global_load_dwordx2 v[27:28], v[25:26], off offset:-2048
	v_add_f64 v[3:4], |v[31:32]|, v[3:4]
	v_add_f64 v[3:4], |v[29:30]|, v[3:4]
	v_add_co_u32 v29, vcc_lo, v1, 0x17000
	v_add_co_ci_u32_e32 v30, vcc_lo, 0, v2, vcc_lo
	s_clause 0x4
	global_load_dwordx2 v[31:32], v[29:30], off offset:-2048
	global_load_dwordx2 v[17:18], v[17:18], off
	global_load_dwordx2 v[21:22], v[21:22], off
	global_load_dwordx2 v[25:26], v[25:26], off
	global_load_dwordx2 v[29:30], v[29:30], off
	v_add_f64 v[3:4], |v[35:36]|, v[3:4]
	v_add_f64 v[3:4], |v[7:8]|, v[3:4]
	v_add_co_u32 v7, vcc_lo, v1, 0x18000
	v_add_co_ci_u32_e32 v8, vcc_lo, 0, v2, vcc_lo
	s_clause 0x3
	global_load_dwordx2 v[35:36], v[7:8], off offset:-2048
	global_load_dwordx2 v[5:6], v[5:6], off
	global_load_dwordx2 v[7:8], v[7:8], off
	global_load_dwordx2 v[9:10], v[9:10], off
	s_waitcnt vmcnt(15)
	v_add_f64 v[3:4], |v[33:34]|, v[3:4]
	s_waitcnt vmcnt(2)
	v_add_f64 v[3:4], |v[5:6]|, v[3:4]
	v_add_co_u32 v5, vcc_lo, v1, 0x19000
	v_add_co_ci_u32_e32 v6, vcc_lo, 0, v2, vcc_lo
	global_load_dwordx2 v[33:34], v[5:6], off offset:-2048
	v_add_f64 v[3:4], |v[11:12]|, v[3:4]
	s_waitcnt vmcnt(1)
	v_add_f64 v[3:4], |v[9:10]|, v[3:4]
	v_add_co_u32 v9, vcc_lo, v1, 0x1a000
	v_add_co_ci_u32_e32 v10, vcc_lo, 0, v2, vcc_lo
	global_load_dwordx2 v[11:12], v[9:10], off offset:-2048
	v_add_f64 v[3:4], |v[15:16]|, v[3:4]
	v_add_f64 v[3:4], |v[13:14]|, v[3:4]
	v_add_co_u32 v13, vcc_lo, v1, 0x1b000
	v_add_co_ci_u32_e32 v14, vcc_lo, 0, v2, vcc_lo
	s_clause 0x1
	global_load_dwordx2 v[15:16], v[13:14], off offset:-2048
	global_load_dwordx2 v[13:14], v[13:14], off
	v_add_f64 v[3:4], |v[19:20]|, v[3:4]
	v_add_f64 v[3:4], |v[17:18]|, v[3:4]
	v_add_co_u32 v17, vcc_lo, v1, 0x1c000
	v_add_co_ci_u32_e32 v18, vcc_lo, 0, v2, vcc_lo
	global_load_dwordx2 v[19:20], v[17:18], off offset:-2048
	v_add_f64 v[3:4], |v[23:24]|, v[3:4]
	v_add_f64 v[3:4], |v[21:22]|, v[3:4]
	v_add_co_u32 v21, vcc_lo, v1, 0x1d000
	v_add_co_ci_u32_e32 v22, vcc_lo, 0, v2, vcc_lo
	global_load_dwordx2 v[23:24], v[21:22], off offset:-2048
	v_add_f64 v[3:4], |v[27:28]|, v[3:4]
	v_add_f64 v[3:4], |v[25:26]|, v[3:4]
	v_add_co_u32 v25, vcc_lo, v1, 0x1e000
	v_add_co_ci_u32_e32 v26, vcc_lo, 0, v2, vcc_lo
	global_load_dwordx2 v[27:28], v[25:26], off offset:-2048
	v_add_f64 v[3:4], |v[31:32]|, v[3:4]
	v_add_f64 v[3:4], |v[29:30]|, v[3:4]
	v_add_co_u32 v29, vcc_lo, v1, 0x1f000
	v_add_co_ci_u32_e32 v30, vcc_lo, 0, v2, vcc_lo
	s_clause 0x4
	global_load_dwordx2 v[31:32], v[29:30], off offset:-2048
	global_load_dwordx2 v[17:18], v[17:18], off
	global_load_dwordx2 v[21:22], v[21:22], off
	global_load_dwordx2 v[25:26], v[25:26], off
	global_load_dwordx2 v[29:30], v[29:30], off
	v_add_f64 v[3:4], |v[35:36]|, v[3:4]
	v_add_f64 v[3:4], |v[7:8]|, v[3:4]
	v_add_co_u32 v7, vcc_lo, v1, 0x20000
	v_add_co_ci_u32_e32 v8, vcc_lo, 0, v2, vcc_lo
	s_clause 0x3
	global_load_dwordx2 v[35:36], v[7:8], off offset:-2048
	global_load_dwordx2 v[5:6], v[5:6], off
	global_load_dwordx2 v[7:8], v[7:8], off
	global_load_dwordx2 v[9:10], v[9:10], off
	s_waitcnt vmcnt(15)
	v_add_f64 v[3:4], |v[33:34]|, v[3:4]
	s_waitcnt vmcnt(2)
	v_add_f64 v[3:4], |v[5:6]|, v[3:4]
	v_add_co_u32 v5, vcc_lo, v1, 0x21000
	v_add_co_ci_u32_e32 v6, vcc_lo, 0, v2, vcc_lo
	global_load_dwordx2 v[33:34], v[5:6], off offset:-2048
	v_add_f64 v[3:4], |v[11:12]|, v[3:4]
	s_waitcnt vmcnt(1)
	v_add_f64 v[3:4], |v[9:10]|, v[3:4]
	v_add_co_u32 v9, vcc_lo, v1, 0x22000
	v_add_co_ci_u32_e32 v10, vcc_lo, 0, v2, vcc_lo
	global_load_dwordx2 v[11:12], v[9:10], off offset:-2048
	v_add_f64 v[3:4], |v[15:16]|, v[3:4]
	v_add_f64 v[3:4], |v[13:14]|, v[3:4]
	v_add_co_u32 v13, vcc_lo, v1, 0x23000
	v_add_co_ci_u32_e32 v14, vcc_lo, 0, v2, vcc_lo
	s_clause 0x1
	global_load_dwordx2 v[15:16], v[13:14], off offset:-2048
	global_load_dwordx2 v[13:14], v[13:14], off
	v_add_f64 v[3:4], |v[19:20]|, v[3:4]
	v_add_f64 v[3:4], |v[17:18]|, v[3:4]
	v_add_co_u32 v17, vcc_lo, v1, 0x24000
	v_add_co_ci_u32_e32 v18, vcc_lo, 0, v2, vcc_lo
	global_load_dwordx2 v[19:20], v[17:18], off offset:-2048
	v_add_f64 v[3:4], |v[23:24]|, v[3:4]
	v_add_f64 v[3:4], |v[21:22]|, v[3:4]
	v_add_co_u32 v21, vcc_lo, v1, 0x25000
	v_add_co_ci_u32_e32 v22, vcc_lo, 0, v2, vcc_lo
	global_load_dwordx2 v[23:24], v[21:22], off offset:-2048
	v_add_f64 v[3:4], |v[27:28]|, v[3:4]
	;; [unrolled: 54-line block ×3, first 2 shown]
	v_add_f64 v[3:4], |v[25:26]|, v[3:4]
	v_add_co_u32 v25, vcc_lo, v1, 0x2e000
	v_add_co_ci_u32_e32 v26, vcc_lo, 0, v2, vcc_lo
	global_load_dwordx2 v[27:28], v[25:26], off offset:-2048
	v_add_f64 v[3:4], |v[31:32]|, v[3:4]
	v_add_f64 v[3:4], |v[29:30]|, v[3:4]
	v_add_co_u32 v29, vcc_lo, v1, 0x2f000
	v_add_co_ci_u32_e32 v30, vcc_lo, 0, v2, vcc_lo
	s_clause 0x3
	global_load_dwordx2 v[31:32], v[29:30], off offset:-2048
	global_load_dwordx2 v[21:22], v[21:22], off
	global_load_dwordx2 v[25:26], v[25:26], off
	;; [unrolled: 1-line block ×3, first 2 shown]
	v_add_f64 v[3:4], |v[35:36]|, v[3:4]
	v_add_f64 v[3:4], |v[7:8]|, v[3:4]
	v_add_co_u32 v7, vcc_lo, v1, 0x30000
	v_add_co_ci_u32_e32 v8, vcc_lo, 0, v2, vcc_lo
	s_clause 0x3
	global_load_dwordx2 v[35:36], v[7:8], off offset:-2048
	global_load_dwordx2 v[5:6], v[5:6], off
	global_load_dwordx2 v[7:8], v[7:8], off
	global_load_dwordx2 v[9:10], v[9:10], off
	s_waitcnt vmcnt(14)
	v_add_f64 v[3:4], |v[33:34]|, v[3:4]
	s_waitcnt vmcnt(2)
	v_add_f64 v[3:4], |v[5:6]|, v[3:4]
	v_add_co_u32 v5, vcc_lo, v1, 0x31000
	v_add_co_ci_u32_e32 v6, vcc_lo, 0, v2, vcc_lo
	global_load_dwordx2 v[33:34], v[5:6], off offset:-2048
	v_add_f64 v[3:4], |v[11:12]|, v[3:4]
	s_waitcnt vmcnt(1)
	v_add_f64 v[3:4], |v[9:10]|, v[3:4]
	v_add_co_u32 v9, vcc_lo, v1, 0x32000
	v_add_co_ci_u32_e32 v10, vcc_lo, 0, v2, vcc_lo
	global_load_dwordx2 v[11:12], v[9:10], off offset:-2048
	v_add_f64 v[3:4], |v[15:16]|, v[3:4]
	v_add_f64 v[3:4], |v[13:14]|, v[3:4]
	v_add_co_u32 v13, vcc_lo, v1, 0x33000
	v_add_co_ci_u32_e32 v14, vcc_lo, 0, v2, vcc_lo
	s_clause 0x1
	global_load_dwordx2 v[15:16], v[13:14], off offset:-2048
	global_load_dwordx2 v[17:18], v[17:18], off
	v_add_f64 v[3:4], |v[19:20]|, v[3:4]
	s_waitcnt vmcnt(0)
	v_add_f64 v[3:4], |v[17:18]|, v[3:4]
	v_add_co_u32 v17, vcc_lo, v1, 0x34000
	v_add_co_ci_u32_e32 v18, vcc_lo, 0, v2, vcc_lo
	s_clause 0x1
	global_load_dwordx2 v[19:20], v[17:18], off offset:-2048
	global_load_dwordx2 v[17:18], v[17:18], off
	v_add_f64 v[3:4], |v[23:24]|, v[3:4]
	v_add_f64 v[3:4], |v[21:22]|, v[3:4]
	v_add_co_u32 v21, vcc_lo, v1, 0x35000
	v_add_co_ci_u32_e32 v22, vcc_lo, 0, v2, vcc_lo
	s_clause 0x1
	global_load_dwordx2 v[23:24], v[21:22], off offset:-2048
	global_load_dwordx2 v[21:22], v[21:22], off
	v_add_f64 v[3:4], |v[27:28]|, v[3:4]
	v_add_f64 v[3:4], |v[25:26]|, v[3:4]
	v_add_co_u32 v25, vcc_lo, v1, 0x36000
	v_add_co_ci_u32_e32 v26, vcc_lo, 0, v2, vcc_lo
	global_load_dwordx2 v[27:28], v[25:26], off offset:-2048
	v_add_f64 v[3:4], |v[31:32]|, v[3:4]
	v_add_f64 v[3:4], |v[29:30]|, v[3:4]
	v_add_co_u32 v29, vcc_lo, v1, 0x37000
	v_add_co_ci_u32_e32 v30, vcc_lo, 0, v2, vcc_lo
	s_clause 0x2
	global_load_dwordx2 v[31:32], v[29:30], off offset:-2048
	global_load_dwordx2 v[25:26], v[25:26], off
	global_load_dwordx2 v[29:30], v[29:30], off
	v_add_f64 v[3:4], |v[35:36]|, v[3:4]
	v_add_f64 v[3:4], |v[7:8]|, v[3:4]
	v_add_co_u32 v7, vcc_lo, v1, 0x38000
	v_add_co_ci_u32_e32 v8, vcc_lo, 0, v2, vcc_lo
	s_clause 0x4
	global_load_dwordx2 v[35:36], v[7:8], off offset:-2048
	global_load_dwordx2 v[5:6], v[5:6], off
	global_load_dwordx2 v[13:14], v[13:14], off
	global_load_dwordx2 v[9:10], v[9:10], off
	global_load_dwordx2 v[7:8], v[7:8], off
	v_add_f64 v[3:4], |v[33:34]|, v[3:4]
	s_waitcnt vmcnt(3)
	v_add_f64 v[3:4], |v[5:6]|, v[3:4]
	v_add_co_u32 v5, vcc_lo, v1, 0x39000
	v_add_co_ci_u32_e32 v6, vcc_lo, 0, v2, vcc_lo
	s_clause 0x1
	global_load_dwordx2 v[33:34], v[5:6], off offset:-2048
	global_load_dwordx2 v[5:6], v[5:6], off
	v_add_f64 v[3:4], |v[11:12]|, v[3:4]
	s_waitcnt vmcnt(3)
	v_add_f64 v[3:4], |v[9:10]|, v[3:4]
	v_add_co_u32 v9, vcc_lo, v1, 0x3a000
	v_add_co_ci_u32_e32 v10, vcc_lo, 0, v2, vcc_lo
	global_load_dwordx2 v[11:12], v[9:10], off offset:-2048
	v_add_f64 v[3:4], |v[15:16]|, v[3:4]
	v_add_f64 v[3:4], |v[13:14]|, v[3:4]
	v_add_co_u32 v13, vcc_lo, v1, 0x3b000
	v_add_co_ci_u32_e32 v14, vcc_lo, 0, v2, vcc_lo
	global_load_dwordx2 v[15:16], v[13:14], off offset:-2048
	v_add_f64 v[3:4], |v[19:20]|, v[3:4]
	v_add_f64 v[3:4], |v[17:18]|, v[3:4]
	v_add_co_u32 v17, vcc_lo, v1, 0x3c000
	v_add_co_ci_u32_e32 v18, vcc_lo, 0, v2, vcc_lo
	s_clause 0x3
	global_load_dwordx2 v[19:20], v[17:18], off offset:-2048
	global_load_dwordx2 v[9:10], v[9:10], off
	global_load_dwordx2 v[13:14], v[13:14], off
	;; [unrolled: 1-line block ×3, first 2 shown]
	v_add_f64 v[3:4], |v[23:24]|, v[3:4]
	v_add_f64 v[3:4], |v[21:22]|, v[3:4]
	v_add_co_u32 v21, vcc_lo, v1, 0x3d000
	v_add_co_ci_u32_e32 v22, vcc_lo, 0, v2, vcc_lo
	s_clause 0x1
	global_load_dwordx2 v[23:24], v[21:22], off offset:-2048
	global_load_dwordx2 v[21:22], v[21:22], off
	v_add_f64 v[3:4], |v[27:28]|, v[3:4]
	v_add_f64 v[3:4], |v[25:26]|, v[3:4]
	v_add_co_u32 v25, vcc_lo, v1, 0x3e000
	v_add_co_ci_u32_e32 v26, vcc_lo, 0, v2, vcc_lo
	global_load_dwordx2 v[27:28], v[25:26], off offset:-2048
	v_add_f64 v[3:4], |v[31:32]|, v[3:4]
	v_add_f64 v[3:4], |v[29:30]|, v[3:4]
	v_add_co_u32 v29, vcc_lo, v1, 0x3f000
	v_add_co_ci_u32_e32 v30, vcc_lo, 0, v2, vcc_lo
	s_clause 0x2
	global_load_dwordx2 v[31:32], v[29:30], off offset:-2048
	global_load_dwordx2 v[25:26], v[25:26], off
	global_load_dwordx2 v[29:30], v[29:30], off
	v_add_f64 v[3:4], |v[35:36]|, v[3:4]
	s_waitcnt vmcnt(14)
	v_add_f64 v[3:4], |v[7:8]|, v[3:4]
	s_waitcnt vmcnt(13)
	;; [unrolled: 2-line block ×5, first 2 shown]
	v_add_f64 v[3:4], |v[9:10]|, v[3:4]
	v_add_f64 v[3:4], |v[15:16]|, v[3:4]
	s_waitcnt vmcnt(7)
	v_add_f64 v[3:4], |v[13:14]|, v[3:4]
	v_add_f64 v[3:4], |v[19:20]|, v[3:4]
	s_waitcnt vmcnt(6)
	v_add_f64 v[3:4], |v[17:18]|, v[3:4]
	s_waitcnt vmcnt(5)
	;; [unrolled: 2-line block ×5, first 2 shown]
	v_add_f64 v[3:4], |v[25:26]|, v[3:4]
	v_add_f64 v[3:4], |v[31:32]|, v[3:4]
	s_waitcnt vmcnt(0)
	v_add_f64 v[3:4], |v[29:30]|, v[3:4]
	v_add_f64 v[3:4], |v[37:38]|, v[3:4]
	v_mov_b32_dpp v5, v3 quad_perm:[1,0,3,2] row_mask:0xf bank_mask:0xf
	v_mov_b32_dpp v6, v4 quad_perm:[1,0,3,2] row_mask:0xf bank_mask:0xf
	v_add_f64 v[3:4], v[3:4], v[5:6]
	v_mov_b32_dpp v5, v3 quad_perm:[2,3,0,1] row_mask:0xf bank_mask:0xf
	v_mov_b32_dpp v6, v4 quad_perm:[2,3,0,1] row_mask:0xf bank_mask:0xf
	v_add_f64 v[3:4], v[3:4], v[5:6]
	v_mov_b32_dpp v5, v3 row_ror:4 row_mask:0xf bank_mask:0xf
	v_mov_b32_dpp v6, v4 row_ror:4 row_mask:0xf bank_mask:0xf
	v_add_f64 v[3:4], v[3:4], v[5:6]
	v_mov_b32_dpp v5, v3 row_ror:8 row_mask:0xf bank_mask:0xf
	v_mov_b32_dpp v6, v4 row_ror:8 row_mask:0xf bank_mask:0xf
	v_add_f64 v[3:4], v[3:4], v[5:6]
	ds_swizzle_b32 v5, v3 offset:swizzle(BROADCAST,32,15)
	ds_swizzle_b32 v6, v4 offset:swizzle(BROADCAST,32,15)
	s_waitcnt lgkmcnt(0)
	v_add_f64 v[3:4], v[3:4], v[5:6]
	v_mov_b32_e32 v5, 0
	ds_bpermute_b32 v3, v5, v3 offset:124
	ds_bpermute_b32 v4, v5, v4 offset:124
	v_mbcnt_lo_u32_b32 v5, -1, 0
	v_cmpx_eq_u32_e32 0, v5
	s_cbranch_execz .LBB17_3
; %bb.2:
	v_lshrrev_b32_e32 v6, 2, v0
	v_and_b32_e32 v6, 56, v6
	s_waitcnt lgkmcnt(0)
	ds_write_b64 v6, v[3:4]
.LBB17_3:
	s_or_b32 exec_lo, exec_lo, s1
	s_mov_b32 s1, exec_lo
	s_waitcnt lgkmcnt(0)
	s_barrier
	buffer_gl0_inv
	v_cmpx_gt_u32_e32 32, v0
	s_cbranch_execz .LBB17_5
; %bb.4:
	v_and_b32_e32 v8, 7, v5
	v_lshlrev_b32_e32 v3, 3, v8
	v_cmp_ne_u32_e32 vcc_lo, 7, v8
	ds_read_b64 v[3:4], v3
	v_add_co_ci_u32_e32 v6, vcc_lo, 0, v5, vcc_lo
	v_cmp_gt_u32_e32 vcc_lo, 6, v8
	v_lshlrev_b32_e32 v7, 2, v6
	s_waitcnt lgkmcnt(0)
	ds_bpermute_b32 v6, v7, v3
	ds_bpermute_b32 v7, v7, v4
	s_waitcnt lgkmcnt(0)
	v_add_f64 v[3:4], v[3:4], v[6:7]
	v_cndmask_b32_e64 v6, 0, 1, vcc_lo
	v_cmp_gt_u32_e32 vcc_lo, 4, v8
	v_lshlrev_b32_e32 v6, 1, v6
	v_add_lshl_u32 v7, v6, v5, 2
	ds_bpermute_b32 v6, v7, v3
	ds_bpermute_b32 v7, v7, v4
	s_waitcnt lgkmcnt(0)
	v_add_f64 v[3:4], v[3:4], v[6:7]
	v_cndmask_b32_e64 v6, 0, 1, vcc_lo
	v_lshlrev_b32_e32 v6, 2, v6
	v_add_lshl_u32 v6, v6, v5, 2
	ds_bpermute_b32 v5, v6, v3
	ds_bpermute_b32 v6, v6, v4
	s_waitcnt lgkmcnt(0)
	v_add_f64 v[3:4], v[3:4], v[5:6]
.LBB17_5:
	s_or_b32 exec_lo, exec_lo, s1
	s_branch .LBB17_284
.LBB17_6:
                                        ; implicit-def: $vgpr3_vgpr4
	s_cbranch_execz .LBB17_284
; %bb.7:
	v_readlane_b32 s8, v254, 2
	v_readlane_b32 s9, v254, 3
	v_readlane_b32 s10, v254, 4
	v_readlane_b32 s11, v254, 5
                                        ; implicit-def: $vgpr3_vgpr4
	s_sub_i32 s29, s8, s0
	s_mov_b32 s0, exec_lo
	v_cmpx_gt_u32_e64 s29, v0
	s_cbranch_execz .LBB17_9
; %bb.8:
	global_load_dwordx2 v[3:4], v[1:2], off
	s_waitcnt vmcnt(0)
	v_and_b32_e32 v4, 0x7fffffff, v4
.LBB17_9:
	s_or_b32 exec_lo, exec_lo, s0
	v_or_b32_e32 v5, 0x100, v0
	v_cmp_gt_u32_e64 s1, s29, v5
                                        ; implicit-def: $vgpr5_vgpr6
                                        ; kill: killed $vgpr5_vgpr6
	v_writelane_b32 v254, s1, 6
	s_and_saveexec_b32 s0, s1
	s_cbranch_execz .LBB17_11
; %bb.10:
	v_add_co_u32 v5, vcc_lo, 0x800, v1
	v_add_co_ci_u32_e32 v6, vcc_lo, 0, v2, vcc_lo
	global_load_dwordx2 v[5:6], v[5:6], off
	s_waitcnt vmcnt(0)
	v_and_b32_e32 v6, 0x7fffffff, v6
	buffer_store_dword v5, off, s[100:103], 0 ; 4-byte Folded Spill
	buffer_store_dword v6, off, s[100:103], 0 offset:4 ; 4-byte Folded Spill
.LBB17_11:
	s_or_b32 exec_lo, exec_lo, s0
	v_or_b32_e32 v5, 0x200, v0
	v_cmp_gt_u32_e64 s1, s29, v5
                                        ; implicit-def: $vgpr5_vgpr6
                                        ; kill: killed $vgpr5_vgpr6
	v_writelane_b32 v254, s1, 7
	s_and_saveexec_b32 s0, s1
	s_cbranch_execz .LBB17_13
; %bb.12:
	v_add_co_u32 v5, vcc_lo, 0x1000, v1
	v_add_co_ci_u32_e32 v6, vcc_lo, 0, v2, vcc_lo
	global_load_dwordx2 v[5:6], v[5:6], off
	s_waitcnt vmcnt(0)
	v_and_b32_e32 v6, 0x7fffffff, v6
	buffer_store_dword v5, off, s[100:103], 0 offset:8 ; 4-byte Folded Spill
	buffer_store_dword v6, off, s[100:103], 0 offset:12 ; 4-byte Folded Spill
.LBB17_13:
	s_or_b32 exec_lo, exec_lo, s0
	v_or_b32_e32 v5, 0x300, v0
	v_cmp_gt_u32_e64 s1, s29, v5
                                        ; implicit-def: $vgpr5_vgpr6
                                        ; kill: killed $vgpr5_vgpr6
	v_writelane_b32 v254, s1, 8
	s_and_saveexec_b32 s0, s1
	s_cbranch_execz .LBB17_15
; %bb.14:
	v_add_co_u32 v5, vcc_lo, 0x1800, v1
	v_add_co_ci_u32_e32 v6, vcc_lo, 0, v2, vcc_lo
	global_load_dwordx2 v[5:6], v[5:6], off
	s_waitcnt vmcnt(0)
	v_and_b32_e32 v6, 0x7fffffff, v6
	buffer_store_dword v5, off, s[100:103], 0 offset:16 ; 4-byte Folded Spill
	buffer_store_dword v6, off, s[100:103], 0 offset:20 ; 4-byte Folded Spill
.LBB17_15:
	s_or_b32 exec_lo, exec_lo, s0
	v_or_b32_e32 v5, 0x400, v0
                                        ; implicit-def: $vgpr11_vgpr12
	v_cmp_gt_u32_e64 s1, s29, v5
	v_writelane_b32 v254, s1, 9
	s_and_saveexec_b32 s0, s1
	s_cbranch_execz .LBB17_17
; %bb.16:
	v_add_co_u32 v5, vcc_lo, 0x2000, v1
	v_add_co_ci_u32_e32 v6, vcc_lo, 0, v2, vcc_lo
	global_load_dwordx2 v[11:12], v[5:6], off
	s_waitcnt vmcnt(0)
	v_and_b32_e32 v12, 0x7fffffff, v12
.LBB17_17:
	s_or_b32 exec_lo, exec_lo, s0
	v_or_b32_e32 v5, 0x500, v0
                                        ; implicit-def: $vgpr13_vgpr14
	v_cmp_gt_u32_e64 s1, s29, v5
	v_writelane_b32 v254, s1, 10
	s_and_saveexec_b32 s0, s1
	s_cbranch_execz .LBB17_19
; %bb.18:
	v_add_co_u32 v5, vcc_lo, 0x2800, v1
	v_add_co_ci_u32_e32 v6, vcc_lo, 0, v2, vcc_lo
	global_load_dwordx2 v[13:14], v[5:6], off
	s_waitcnt vmcnt(0)
	v_and_b32_e32 v14, 0x7fffffff, v14
.LBB17_19:
	s_or_b32 exec_lo, exec_lo, s0
	v_or_b32_e32 v5, 0x600, v0
                                        ; implicit-def: $vgpr15_vgpr16
	v_cmp_gt_u32_e64 s1, s29, v5
	v_writelane_b32 v254, s1, 11
	s_and_saveexec_b32 s0, s1
	s_cbranch_execz .LBB17_21
; %bb.20:
	v_add_co_u32 v5, vcc_lo, 0x3000, v1
	v_add_co_ci_u32_e32 v6, vcc_lo, 0, v2, vcc_lo
	global_load_dwordx2 v[15:16], v[5:6], off
	s_waitcnt vmcnt(0)
	v_and_b32_e32 v16, 0x7fffffff, v16
.LBB17_21:
	s_or_b32 exec_lo, exec_lo, s0
	v_or_b32_e32 v5, 0x700, v0
                                        ; implicit-def: $vgpr17_vgpr18
	v_cmp_gt_u32_e64 s1, s29, v5
	v_writelane_b32 v254, s1, 12
	s_and_saveexec_b32 s0, s1
	s_cbranch_execz .LBB17_23
; %bb.22:
	v_add_co_u32 v5, vcc_lo, 0x3800, v1
	v_add_co_ci_u32_e32 v6, vcc_lo, 0, v2, vcc_lo
	global_load_dwordx2 v[17:18], v[5:6], off
	s_waitcnt vmcnt(0)
	v_and_b32_e32 v18, 0x7fffffff, v18
.LBB17_23:
	s_or_b32 exec_lo, exec_lo, s0
	v_or_b32_e32 v5, 0x800, v0
                                        ; implicit-def: $vgpr19_vgpr20
	v_cmp_gt_u32_e64 s1, s29, v5
	v_writelane_b32 v254, s1, 13
	s_and_saveexec_b32 s0, s1
	s_cbranch_execz .LBB17_25
; %bb.24:
	v_add_co_u32 v5, vcc_lo, 0x4000, v1
	v_add_co_ci_u32_e32 v6, vcc_lo, 0, v2, vcc_lo
	global_load_dwordx2 v[19:20], v[5:6], off
	s_waitcnt vmcnt(0)
	v_and_b32_e32 v20, 0x7fffffff, v20
.LBB17_25:
	s_or_b32 exec_lo, exec_lo, s0
	v_or_b32_e32 v5, 0x900, v0
                                        ; implicit-def: $vgpr21_vgpr22
	v_cmp_gt_u32_e64 s1, s29, v5
	v_writelane_b32 v254, s1, 14
	s_and_saveexec_b32 s0, s1
	s_cbranch_execz .LBB17_27
; %bb.26:
	v_add_co_u32 v5, vcc_lo, 0x4800, v1
	v_add_co_ci_u32_e32 v6, vcc_lo, 0, v2, vcc_lo
	global_load_dwordx2 v[21:22], v[5:6], off
	s_waitcnt vmcnt(0)
	v_and_b32_e32 v22, 0x7fffffff, v22
.LBB17_27:
	s_or_b32 exec_lo, exec_lo, s0
	v_or_b32_e32 v5, 0xa00, v0
                                        ; implicit-def: $vgpr23_vgpr24
	v_cmp_gt_u32_e64 s1, s29, v5
	v_writelane_b32 v254, s1, 15
	s_and_saveexec_b32 s0, s1
	s_cbranch_execz .LBB17_29
; %bb.28:
	v_add_co_u32 v5, vcc_lo, 0x5000, v1
	v_add_co_ci_u32_e32 v6, vcc_lo, 0, v2, vcc_lo
	global_load_dwordx2 v[23:24], v[5:6], off
	s_waitcnt vmcnt(0)
	v_and_b32_e32 v24, 0x7fffffff, v24
.LBB17_29:
	s_or_b32 exec_lo, exec_lo, s0
	v_or_b32_e32 v5, 0xb00, v0
                                        ; implicit-def: $vgpr25_vgpr26
	v_cmp_gt_u32_e64 s1, s29, v5
	v_writelane_b32 v254, s1, 16
	s_and_saveexec_b32 s0, s1
	s_cbranch_execz .LBB17_31
; %bb.30:
	v_add_co_u32 v5, vcc_lo, 0x5800, v1
	v_add_co_ci_u32_e32 v6, vcc_lo, 0, v2, vcc_lo
	global_load_dwordx2 v[25:26], v[5:6], off
	s_waitcnt vmcnt(0)
	v_and_b32_e32 v26, 0x7fffffff, v26
.LBB17_31:
	s_or_b32 exec_lo, exec_lo, s0
	v_or_b32_e32 v5, 0xc00, v0
                                        ; implicit-def: $vgpr27_vgpr28
	v_cmp_gt_u32_e64 s1, s29, v5
	v_writelane_b32 v254, s1, 17
	s_and_saveexec_b32 s0, s1
	s_cbranch_execz .LBB17_33
; %bb.32:
	v_add_co_u32 v5, vcc_lo, 0x6000, v1
	v_add_co_ci_u32_e32 v6, vcc_lo, 0, v2, vcc_lo
	global_load_dwordx2 v[27:28], v[5:6], off
	s_waitcnt vmcnt(0)
	v_and_b32_e32 v28, 0x7fffffff, v28
.LBB17_33:
	s_or_b32 exec_lo, exec_lo, s0
	v_or_b32_e32 v5, 0xd00, v0
                                        ; implicit-def: $vgpr29_vgpr30
	v_cmp_gt_u32_e64 s1, s29, v5
	v_writelane_b32 v254, s1, 18
	s_and_saveexec_b32 s0, s1
	s_cbranch_execz .LBB17_35
; %bb.34:
	v_add_co_u32 v5, vcc_lo, 0x6800, v1
	v_add_co_ci_u32_e32 v6, vcc_lo, 0, v2, vcc_lo
	global_load_dwordx2 v[29:30], v[5:6], off
	s_waitcnt vmcnt(0)
	v_and_b32_e32 v30, 0x7fffffff, v30
.LBB17_35:
	s_or_b32 exec_lo, exec_lo, s0
	v_or_b32_e32 v5, 0xe00, v0
                                        ; implicit-def: $vgpr31_vgpr32
	v_cmp_gt_u32_e64 s1, s29, v5
	v_writelane_b32 v254, s1, 19
	s_and_saveexec_b32 s0, s1
	s_cbranch_execz .LBB17_37
; %bb.36:
	v_add_co_u32 v5, vcc_lo, 0x7000, v1
	v_add_co_ci_u32_e32 v6, vcc_lo, 0, v2, vcc_lo
	global_load_dwordx2 v[31:32], v[5:6], off
	s_waitcnt vmcnt(0)
	v_and_b32_e32 v32, 0x7fffffff, v32
.LBB17_37:
	s_or_b32 exec_lo, exec_lo, s0
	v_or_b32_e32 v5, 0xf00, v0
                                        ; implicit-def: $vgpr33_vgpr34
	v_cmp_gt_u32_e64 s1, s29, v5
	v_writelane_b32 v254, s1, 20
	s_and_saveexec_b32 s0, s1
	s_cbranch_execz .LBB17_39
; %bb.38:
	v_add_co_u32 v5, vcc_lo, 0x7800, v1
	v_add_co_ci_u32_e32 v6, vcc_lo, 0, v2, vcc_lo
	global_load_dwordx2 v[33:34], v[5:6], off
	s_waitcnt vmcnt(0)
	v_and_b32_e32 v34, 0x7fffffff, v34
.LBB17_39:
	s_or_b32 exec_lo, exec_lo, s0
	v_or_b32_e32 v5, 0x1000, v0
                                        ; implicit-def: $vgpr35_vgpr36
	v_cmp_gt_u32_e64 s1, s29, v5
	v_writelane_b32 v254, s1, 21
	s_and_saveexec_b32 s0, s1
	s_cbranch_execz .LBB17_41
; %bb.40:
	v_add_co_u32 v5, vcc_lo, 0x8000, v1
	v_add_co_ci_u32_e32 v6, vcc_lo, 0, v2, vcc_lo
	global_load_dwordx2 v[35:36], v[5:6], off
	s_waitcnt vmcnt(0)
	v_and_b32_e32 v36, 0x7fffffff, v36
.LBB17_41:
	s_or_b32 exec_lo, exec_lo, s0
	v_or_b32_e32 v5, 0x1100, v0
                                        ; implicit-def: $vgpr37_vgpr38
	v_cmp_gt_u32_e64 s1, s29, v5
	v_writelane_b32 v254, s1, 22
	s_and_saveexec_b32 s0, s1
	s_cbranch_execz .LBB17_43
; %bb.42:
	v_add_co_u32 v5, vcc_lo, 0x8800, v1
	v_add_co_ci_u32_e32 v6, vcc_lo, 0, v2, vcc_lo
	global_load_dwordx2 v[37:38], v[5:6], off
	s_waitcnt vmcnt(0)
	v_and_b32_e32 v38, 0x7fffffff, v38
.LBB17_43:
	s_or_b32 exec_lo, exec_lo, s0
	v_or_b32_e32 v5, 0x1200, v0
                                        ; implicit-def: $vgpr39_vgpr40
	v_cmp_gt_u32_e64 s1, s29, v5
	v_writelane_b32 v254, s1, 23
	s_and_saveexec_b32 s0, s1
	s_cbranch_execz .LBB17_45
; %bb.44:
	v_add_co_u32 v5, vcc_lo, 0x9000, v1
	v_add_co_ci_u32_e32 v6, vcc_lo, 0, v2, vcc_lo
	global_load_dwordx2 v[39:40], v[5:6], off
	s_waitcnt vmcnt(0)
	v_and_b32_e32 v40, 0x7fffffff, v40
.LBB17_45:
	s_or_b32 exec_lo, exec_lo, s0
	v_or_b32_e32 v5, 0x1300, v0
                                        ; implicit-def: $vgpr41_vgpr42
	v_cmp_gt_u32_e64 s1, s29, v5
	v_writelane_b32 v254, s1, 24
	s_and_saveexec_b32 s0, s1
	s_cbranch_execz .LBB17_47
; %bb.46:
	v_add_co_u32 v5, vcc_lo, 0x9800, v1
	v_add_co_ci_u32_e32 v6, vcc_lo, 0, v2, vcc_lo
	global_load_dwordx2 v[41:42], v[5:6], off
	s_waitcnt vmcnt(0)
	v_and_b32_e32 v42, 0x7fffffff, v42
.LBB17_47:
	s_or_b32 exec_lo, exec_lo, s0
	v_or_b32_e32 v5, 0x1400, v0
                                        ; implicit-def: $vgpr43_vgpr44
	v_cmp_gt_u32_e64 s1, s29, v5
	v_writelane_b32 v254, s1, 25
	s_and_saveexec_b32 s0, s1
	s_cbranch_execz .LBB17_49
; %bb.48:
	v_add_co_u32 v5, vcc_lo, 0xa000, v1
	v_add_co_ci_u32_e32 v6, vcc_lo, 0, v2, vcc_lo
	global_load_dwordx2 v[43:44], v[5:6], off
	s_waitcnt vmcnt(0)
	v_and_b32_e32 v44, 0x7fffffff, v44
.LBB17_49:
	s_or_b32 exec_lo, exec_lo, s0
	v_or_b32_e32 v5, 0x1500, v0
                                        ; implicit-def: $vgpr45_vgpr46
	v_cmp_gt_u32_e64 s1, s29, v5
	v_writelane_b32 v254, s1, 26
	s_and_saveexec_b32 s0, s1
	s_cbranch_execz .LBB17_51
; %bb.50:
	v_add_co_u32 v5, vcc_lo, 0xa800, v1
	v_add_co_ci_u32_e32 v6, vcc_lo, 0, v2, vcc_lo
	global_load_dwordx2 v[45:46], v[5:6], off
	s_waitcnt vmcnt(0)
	v_and_b32_e32 v46, 0x7fffffff, v46
.LBB17_51:
	s_or_b32 exec_lo, exec_lo, s0
	v_or_b32_e32 v5, 0x1600, v0
                                        ; implicit-def: $vgpr47_vgpr48
	v_cmp_gt_u32_e64 s1, s29, v5
	v_writelane_b32 v254, s1, 27
	s_and_saveexec_b32 s0, s1
	s_cbranch_execz .LBB17_53
; %bb.52:
	v_add_co_u32 v5, vcc_lo, 0xb000, v1
	v_add_co_ci_u32_e32 v6, vcc_lo, 0, v2, vcc_lo
	global_load_dwordx2 v[47:48], v[5:6], off
	s_waitcnt vmcnt(0)
	v_and_b32_e32 v48, 0x7fffffff, v48
.LBB17_53:
	s_or_b32 exec_lo, exec_lo, s0
	v_or_b32_e32 v5, 0x1700, v0
                                        ; implicit-def: $vgpr49_vgpr50
	v_cmp_gt_u32_e64 s1, s29, v5
	v_writelane_b32 v254, s1, 28
	s_and_saveexec_b32 s0, s1
	s_cbranch_execz .LBB17_55
; %bb.54:
	v_add_co_u32 v5, vcc_lo, 0xb800, v1
	v_add_co_ci_u32_e32 v6, vcc_lo, 0, v2, vcc_lo
	global_load_dwordx2 v[49:50], v[5:6], off
	s_waitcnt vmcnt(0)
	v_and_b32_e32 v50, 0x7fffffff, v50
.LBB17_55:
	s_or_b32 exec_lo, exec_lo, s0
	v_or_b32_e32 v5, 0x1800, v0
                                        ; implicit-def: $vgpr51_vgpr52
	v_cmp_gt_u32_e64 s1, s29, v5
	v_writelane_b32 v254, s1, 29
	s_and_saveexec_b32 s0, s1
	s_cbranch_execz .LBB17_57
; %bb.56:
	v_add_co_u32 v5, vcc_lo, 0xc000, v1
	v_add_co_ci_u32_e32 v6, vcc_lo, 0, v2, vcc_lo
	global_load_dwordx2 v[51:52], v[5:6], off
	s_waitcnt vmcnt(0)
	v_and_b32_e32 v52, 0x7fffffff, v52
.LBB17_57:
	s_or_b32 exec_lo, exec_lo, s0
	v_or_b32_e32 v5, 0x1900, v0
                                        ; implicit-def: $vgpr53_vgpr54
	v_cmp_gt_u32_e64 s1, s29, v5
	v_writelane_b32 v254, s1, 30
	s_and_saveexec_b32 s0, s1
	s_cbranch_execz .LBB17_59
; %bb.58:
	v_add_co_u32 v5, vcc_lo, 0xc800, v1
	v_add_co_ci_u32_e32 v6, vcc_lo, 0, v2, vcc_lo
	global_load_dwordx2 v[53:54], v[5:6], off
	s_waitcnt vmcnt(0)
	v_and_b32_e32 v54, 0x7fffffff, v54
.LBB17_59:
	s_or_b32 exec_lo, exec_lo, s0
	v_or_b32_e32 v5, 0x1a00, v0
                                        ; implicit-def: $vgpr55_vgpr56
	v_cmp_gt_u32_e64 s1, s29, v5
	v_writelane_b32 v254, s1, 31
	s_and_saveexec_b32 s0, s1
	s_cbranch_execz .LBB17_61
; %bb.60:
	v_add_co_u32 v5, vcc_lo, 0xd000, v1
	v_add_co_ci_u32_e32 v6, vcc_lo, 0, v2, vcc_lo
	global_load_dwordx2 v[55:56], v[5:6], off
	s_waitcnt vmcnt(0)
	v_and_b32_e32 v56, 0x7fffffff, v56
.LBB17_61:
	s_or_b32 exec_lo, exec_lo, s0
	v_or_b32_e32 v5, 0x1b00, v0
                                        ; implicit-def: $vgpr253 : SGPR spill to VGPR lane
                                        ; implicit-def: $vgpr57_vgpr58
	v_cmp_gt_u32_e64 s1, s29, v5
	v_writelane_b32 v253, s1, 0
	s_and_saveexec_b32 s0, s1
	s_cbranch_execz .LBB17_63
; %bb.62:
	v_add_co_u32 v5, vcc_lo, 0xd800, v1
	v_add_co_ci_u32_e32 v6, vcc_lo, 0, v2, vcc_lo
	global_load_dwordx2 v[57:58], v[5:6], off
	s_waitcnt vmcnt(0)
	v_and_b32_e32 v58, 0x7fffffff, v58
.LBB17_63:
	s_or_b32 exec_lo, exec_lo, s0
	v_or_b32_e32 v5, 0x1c00, v0
                                        ; implicit-def: $vgpr59_vgpr60
	v_cmp_gt_u32_e64 s1, s29, v5
	v_writelane_b32 v253, s1, 1
	s_and_saveexec_b32 s0, s1
	s_cbranch_execz .LBB17_65
; %bb.64:
	v_add_co_u32 v5, vcc_lo, 0xe000, v1
	v_add_co_ci_u32_e32 v6, vcc_lo, 0, v2, vcc_lo
	global_load_dwordx2 v[59:60], v[5:6], off
	s_waitcnt vmcnt(0)
	v_and_b32_e32 v60, 0x7fffffff, v60
.LBB17_65:
	s_or_b32 exec_lo, exec_lo, s0
	v_or_b32_e32 v5, 0x1d00, v0
                                        ; implicit-def: $vgpr61_vgpr62
	v_cmp_gt_u32_e64 s1, s29, v5
	v_writelane_b32 v253, s1, 2
	s_and_saveexec_b32 s0, s1
	s_cbranch_execz .LBB17_67
; %bb.66:
	v_add_co_u32 v5, vcc_lo, 0xe800, v1
	v_add_co_ci_u32_e32 v6, vcc_lo, 0, v2, vcc_lo
	global_load_dwordx2 v[61:62], v[5:6], off
	s_waitcnt vmcnt(0)
	v_and_b32_e32 v62, 0x7fffffff, v62
.LBB17_67:
	s_or_b32 exec_lo, exec_lo, s0
	v_or_b32_e32 v5, 0x1e00, v0
                                        ; implicit-def: $vgpr63_vgpr64
	v_cmp_gt_u32_e64 s1, s29, v5
	v_writelane_b32 v253, s1, 3
	s_and_saveexec_b32 s0, s1
	s_cbranch_execz .LBB17_69
; %bb.68:
	v_add_co_u32 v5, vcc_lo, 0xf000, v1
	v_add_co_ci_u32_e32 v6, vcc_lo, 0, v2, vcc_lo
	global_load_dwordx2 v[63:64], v[5:6], off
	s_waitcnt vmcnt(0)
	v_and_b32_e32 v64, 0x7fffffff, v64
.LBB17_69:
	s_or_b32 exec_lo, exec_lo, s0
	v_or_b32_e32 v5, 0x1f00, v0
                                        ; implicit-def: $vgpr65_vgpr66
	v_cmp_gt_u32_e64 s31, s29, v5
	s_and_saveexec_b32 s0, s31
	s_cbranch_execz .LBB17_71
; %bb.70:
	v_add_co_u32 v5, vcc_lo, 0xf800, v1
	v_add_co_ci_u32_e32 v6, vcc_lo, 0, v2, vcc_lo
	global_load_dwordx2 v[65:66], v[5:6], off
	s_waitcnt vmcnt(0)
	v_and_b32_e32 v66, 0x7fffffff, v66
.LBB17_71:
	s_or_b32 exec_lo, exec_lo, s0
	v_or_b32_e32 v5, 0x2000, v0
                                        ; implicit-def: $vgpr67_vgpr68
	v_cmp_gt_u32_e64 s33, s29, v5
	s_and_saveexec_b32 s0, s33
	s_cbranch_execz .LBB17_73
; %bb.72:
	v_add_co_u32 v5, vcc_lo, 0x10000, v1
	v_add_co_ci_u32_e32 v6, vcc_lo, 0, v2, vcc_lo
	global_load_dwordx2 v[67:68], v[5:6], off
	s_waitcnt vmcnt(0)
	v_and_b32_e32 v68, 0x7fffffff, v68
.LBB17_73:
	s_or_b32 exec_lo, exec_lo, s0
	v_or_b32_e32 v5, 0x2100, v0
                                        ; implicit-def: $vgpr69_vgpr70
	v_cmp_gt_u32_e64 s34, s29, v5
	s_and_saveexec_b32 s0, s34
	s_cbranch_execz .LBB17_75
; %bb.74:
	v_add_co_u32 v5, vcc_lo, 0x10800, v1
	v_add_co_ci_u32_e32 v6, vcc_lo, 0, v2, vcc_lo
	global_load_dwordx2 v[69:70], v[5:6], off
	s_waitcnt vmcnt(0)
	v_and_b32_e32 v70, 0x7fffffff, v70
.LBB17_75:
	s_or_b32 exec_lo, exec_lo, s0
	v_or_b32_e32 v5, 0x2200, v0
                                        ; implicit-def: $vgpr71_vgpr72
	v_cmp_gt_u32_e64 s35, s29, v5
	s_and_saveexec_b32 s0, s35
	s_cbranch_execz .LBB17_77
; %bb.76:
	v_add_co_u32 v5, vcc_lo, 0x11000, v1
	v_add_co_ci_u32_e32 v6, vcc_lo, 0, v2, vcc_lo
	global_load_dwordx2 v[71:72], v[5:6], off
	s_waitcnt vmcnt(0)
	v_and_b32_e32 v72, 0x7fffffff, v72
.LBB17_77:
	s_or_b32 exec_lo, exec_lo, s0
	v_or_b32_e32 v5, 0x2300, v0
                                        ; implicit-def: $vgpr73_vgpr74
	v_cmp_gt_u32_e64 s36, s29, v5
	s_and_saveexec_b32 s0, s36
	s_cbranch_execz .LBB17_79
; %bb.78:
	v_add_co_u32 v5, vcc_lo, 0x11800, v1
	v_add_co_ci_u32_e32 v6, vcc_lo, 0, v2, vcc_lo
	global_load_dwordx2 v[73:74], v[5:6], off
	s_waitcnt vmcnt(0)
	v_and_b32_e32 v74, 0x7fffffff, v74
.LBB17_79:
	s_or_b32 exec_lo, exec_lo, s0
	v_or_b32_e32 v5, 0x2400, v0
                                        ; implicit-def: $vgpr75_vgpr76
	v_cmp_gt_u32_e64 s37, s29, v5
	s_and_saveexec_b32 s0, s37
	s_cbranch_execz .LBB17_81
; %bb.80:
	v_add_co_u32 v5, vcc_lo, 0x12000, v1
	v_add_co_ci_u32_e32 v6, vcc_lo, 0, v2, vcc_lo
	global_load_dwordx2 v[75:76], v[5:6], off
	s_waitcnt vmcnt(0)
	v_and_b32_e32 v76, 0x7fffffff, v76
.LBB17_81:
	s_or_b32 exec_lo, exec_lo, s0
	v_or_b32_e32 v5, 0x2500, v0
                                        ; implicit-def: $vgpr77_vgpr78
	v_cmp_gt_u32_e64 s38, s29, v5
	s_and_saveexec_b32 s0, s38
	s_cbranch_execz .LBB17_83
; %bb.82:
	v_add_co_u32 v5, vcc_lo, 0x12800, v1
	v_add_co_ci_u32_e32 v6, vcc_lo, 0, v2, vcc_lo
	global_load_dwordx2 v[77:78], v[5:6], off
	s_waitcnt vmcnt(0)
	v_and_b32_e32 v78, 0x7fffffff, v78
.LBB17_83:
	s_or_b32 exec_lo, exec_lo, s0
	v_or_b32_e32 v5, 0x2600, v0
                                        ; implicit-def: $vgpr79_vgpr80
	v_cmp_gt_u32_e64 s39, s29, v5
	s_and_saveexec_b32 s0, s39
	s_cbranch_execz .LBB17_85
; %bb.84:
	v_add_co_u32 v5, vcc_lo, 0x13000, v1
	v_add_co_ci_u32_e32 v6, vcc_lo, 0, v2, vcc_lo
	global_load_dwordx2 v[79:80], v[5:6], off
	s_waitcnt vmcnt(0)
	v_and_b32_e32 v80, 0x7fffffff, v80
.LBB17_85:
	s_or_b32 exec_lo, exec_lo, s0
	v_or_b32_e32 v5, 0x2700, v0
                                        ; implicit-def: $vgpr81_vgpr82
	v_cmp_gt_u32_e64 s40, s29, v5
	s_and_saveexec_b32 s0, s40
	s_cbranch_execz .LBB17_87
; %bb.86:
	v_add_co_u32 v5, vcc_lo, 0x13800, v1
	v_add_co_ci_u32_e32 v6, vcc_lo, 0, v2, vcc_lo
	global_load_dwordx2 v[81:82], v[5:6], off
	s_waitcnt vmcnt(0)
	v_and_b32_e32 v82, 0x7fffffff, v82
.LBB17_87:
	s_or_b32 exec_lo, exec_lo, s0
	v_or_b32_e32 v5, 0x2800, v0
                                        ; implicit-def: $vgpr83_vgpr84
	v_cmp_gt_u32_e64 s41, s29, v5
	s_and_saveexec_b32 s0, s41
	s_cbranch_execz .LBB17_89
; %bb.88:
	v_add_co_u32 v5, vcc_lo, 0x14000, v1
	v_add_co_ci_u32_e32 v6, vcc_lo, 0, v2, vcc_lo
	global_load_dwordx2 v[83:84], v[5:6], off
	s_waitcnt vmcnt(0)
	v_and_b32_e32 v84, 0x7fffffff, v84
.LBB17_89:
	s_or_b32 exec_lo, exec_lo, s0
	v_or_b32_e32 v5, 0x2900, v0
                                        ; implicit-def: $vgpr85_vgpr86
	v_cmp_gt_u32_e64 s42, s29, v5
	s_and_saveexec_b32 s0, s42
	s_cbranch_execz .LBB17_91
; %bb.90:
	v_add_co_u32 v5, vcc_lo, 0x14800, v1
	v_add_co_ci_u32_e32 v6, vcc_lo, 0, v2, vcc_lo
	global_load_dwordx2 v[85:86], v[5:6], off
	s_waitcnt vmcnt(0)
	v_and_b32_e32 v86, 0x7fffffff, v86
.LBB17_91:
	s_or_b32 exec_lo, exec_lo, s0
	v_or_b32_e32 v5, 0x2a00, v0
                                        ; implicit-def: $vgpr87_vgpr88
	v_cmp_gt_u32_e64 s43, s29, v5
	s_and_saveexec_b32 s0, s43
	s_cbranch_execz .LBB17_93
; %bb.92:
	v_add_co_u32 v5, vcc_lo, 0x15000, v1
	v_add_co_ci_u32_e32 v6, vcc_lo, 0, v2, vcc_lo
	global_load_dwordx2 v[87:88], v[5:6], off
	s_waitcnt vmcnt(0)
	v_and_b32_e32 v88, 0x7fffffff, v88
.LBB17_93:
	s_or_b32 exec_lo, exec_lo, s0
	v_or_b32_e32 v5, 0x2b00, v0
                                        ; implicit-def: $vgpr89_vgpr90
	v_cmp_gt_u32_e64 s44, s29, v5
	s_and_saveexec_b32 s0, s44
	s_cbranch_execz .LBB17_95
; %bb.94:
	v_add_co_u32 v5, vcc_lo, 0x15800, v1
	v_add_co_ci_u32_e32 v6, vcc_lo, 0, v2, vcc_lo
	global_load_dwordx2 v[89:90], v[5:6], off
	s_waitcnt vmcnt(0)
	v_and_b32_e32 v90, 0x7fffffff, v90
.LBB17_95:
	s_or_b32 exec_lo, exec_lo, s0
	v_or_b32_e32 v5, 0x2c00, v0
                                        ; implicit-def: $vgpr91_vgpr92
	v_cmp_gt_u32_e64 s45, s29, v5
	s_and_saveexec_b32 s0, s45
	s_cbranch_execz .LBB17_97
; %bb.96:
	v_add_co_u32 v5, vcc_lo, 0x16000, v1
	v_add_co_ci_u32_e32 v6, vcc_lo, 0, v2, vcc_lo
	global_load_dwordx2 v[91:92], v[5:6], off
	s_waitcnt vmcnt(0)
	v_and_b32_e32 v92, 0x7fffffff, v92
.LBB17_97:
	s_or_b32 exec_lo, exec_lo, s0
	v_or_b32_e32 v5, 0x2d00, v0
                                        ; implicit-def: $vgpr93_vgpr94
	v_cmp_gt_u32_e64 s46, s29, v5
	s_and_saveexec_b32 s0, s46
	s_cbranch_execz .LBB17_99
; %bb.98:
	v_add_co_u32 v5, vcc_lo, 0x16800, v1
	v_add_co_ci_u32_e32 v6, vcc_lo, 0, v2, vcc_lo
	global_load_dwordx2 v[93:94], v[5:6], off
	s_waitcnt vmcnt(0)
	v_and_b32_e32 v94, 0x7fffffff, v94
.LBB17_99:
	s_or_b32 exec_lo, exec_lo, s0
	v_or_b32_e32 v5, 0x2e00, v0
                                        ; implicit-def: $vgpr95_vgpr96
	v_cmp_gt_u32_e64 s47, s29, v5
	s_and_saveexec_b32 s0, s47
	s_cbranch_execz .LBB17_101
; %bb.100:
	v_add_co_u32 v5, vcc_lo, 0x17000, v1
	v_add_co_ci_u32_e32 v6, vcc_lo, 0, v2, vcc_lo
	global_load_dwordx2 v[95:96], v[5:6], off
	s_waitcnt vmcnt(0)
	v_and_b32_e32 v96, 0x7fffffff, v96
.LBB17_101:
	s_or_b32 exec_lo, exec_lo, s0
	v_or_b32_e32 v5, 0x2f00, v0
                                        ; implicit-def: $vgpr97_vgpr98
	v_cmp_gt_u32_e64 s48, s29, v5
	s_and_saveexec_b32 s0, s48
	s_cbranch_execz .LBB17_103
; %bb.102:
	v_add_co_u32 v5, vcc_lo, 0x17800, v1
	v_add_co_ci_u32_e32 v6, vcc_lo, 0, v2, vcc_lo
	global_load_dwordx2 v[97:98], v[5:6], off
	s_waitcnt vmcnt(0)
	v_and_b32_e32 v98, 0x7fffffff, v98
.LBB17_103:
	s_or_b32 exec_lo, exec_lo, s0
	v_or_b32_e32 v5, 0x3000, v0
                                        ; implicit-def: $vgpr99_vgpr100
	v_cmp_gt_u32_e64 s49, s29, v5
	s_and_saveexec_b32 s0, s49
	s_cbranch_execz .LBB17_105
; %bb.104:
	v_add_co_u32 v5, vcc_lo, 0x18000, v1
	v_add_co_ci_u32_e32 v6, vcc_lo, 0, v2, vcc_lo
	global_load_dwordx2 v[99:100], v[5:6], off
	s_waitcnt vmcnt(0)
	v_and_b32_e32 v100, 0x7fffffff, v100
.LBB17_105:
	s_or_b32 exec_lo, exec_lo, s0
	v_or_b32_e32 v5, 0x3100, v0
                                        ; implicit-def: $vgpr101_vgpr102
	v_cmp_gt_u32_e64 s50, s29, v5
	s_and_saveexec_b32 s0, s50
	s_cbranch_execz .LBB17_107
; %bb.106:
	v_add_co_u32 v5, vcc_lo, 0x18800, v1
	v_add_co_ci_u32_e32 v6, vcc_lo, 0, v2, vcc_lo
	global_load_dwordx2 v[101:102], v[5:6], off
	s_waitcnt vmcnt(0)
	v_and_b32_e32 v102, 0x7fffffff, v102
.LBB17_107:
	s_or_b32 exec_lo, exec_lo, s0
	v_or_b32_e32 v5, 0x3200, v0
                                        ; implicit-def: $vgpr103_vgpr104
	v_cmp_gt_u32_e64 s51, s29, v5
	s_and_saveexec_b32 s0, s51
	s_cbranch_execz .LBB17_109
; %bb.108:
	v_add_co_u32 v5, vcc_lo, 0x19000, v1
	v_add_co_ci_u32_e32 v6, vcc_lo, 0, v2, vcc_lo
	global_load_dwordx2 v[103:104], v[5:6], off
	s_waitcnt vmcnt(0)
	v_and_b32_e32 v104, 0x7fffffff, v104
.LBB17_109:
	s_or_b32 exec_lo, exec_lo, s0
	v_or_b32_e32 v5, 0x3300, v0
                                        ; implicit-def: $vgpr105_vgpr106
	v_cmp_gt_u32_e64 s52, s29, v5
	s_and_saveexec_b32 s0, s52
	s_cbranch_execz .LBB17_111
; %bb.110:
	v_add_co_u32 v5, vcc_lo, 0x19800, v1
	v_add_co_ci_u32_e32 v6, vcc_lo, 0, v2, vcc_lo
	global_load_dwordx2 v[105:106], v[5:6], off
	s_waitcnt vmcnt(0)
	v_and_b32_e32 v106, 0x7fffffff, v106
.LBB17_111:
	s_or_b32 exec_lo, exec_lo, s0
	v_or_b32_e32 v5, 0x3400, v0
                                        ; implicit-def: $vgpr107_vgpr108
	v_cmp_gt_u32_e64 s53, s29, v5
	s_and_saveexec_b32 s0, s53
	s_cbranch_execz .LBB17_113
; %bb.112:
	v_add_co_u32 v5, vcc_lo, 0x1a000, v1
	v_add_co_ci_u32_e32 v6, vcc_lo, 0, v2, vcc_lo
	global_load_dwordx2 v[107:108], v[5:6], off
	s_waitcnt vmcnt(0)
	v_and_b32_e32 v108, 0x7fffffff, v108
.LBB17_113:
	s_or_b32 exec_lo, exec_lo, s0
	v_or_b32_e32 v5, 0x3500, v0
                                        ; implicit-def: $vgpr109_vgpr110
	v_cmp_gt_u32_e64 s54, s29, v5
	s_and_saveexec_b32 s0, s54
	s_cbranch_execz .LBB17_115
; %bb.114:
	v_add_co_u32 v5, vcc_lo, 0x1a800, v1
	v_add_co_ci_u32_e32 v6, vcc_lo, 0, v2, vcc_lo
	global_load_dwordx2 v[109:110], v[5:6], off
	s_waitcnt vmcnt(0)
	v_and_b32_e32 v110, 0x7fffffff, v110
.LBB17_115:
	s_or_b32 exec_lo, exec_lo, s0
	v_or_b32_e32 v5, 0x3600, v0
                                        ; implicit-def: $vgpr111_vgpr112
	v_cmp_gt_u32_e64 s55, s29, v5
	s_and_saveexec_b32 s0, s55
	s_cbranch_execz .LBB17_117
; %bb.116:
	v_add_co_u32 v5, vcc_lo, 0x1b000, v1
	v_add_co_ci_u32_e32 v6, vcc_lo, 0, v2, vcc_lo
	global_load_dwordx2 v[111:112], v[5:6], off
	s_waitcnt vmcnt(0)
	v_and_b32_e32 v112, 0x7fffffff, v112
.LBB17_117:
	s_or_b32 exec_lo, exec_lo, s0
	v_or_b32_e32 v5, 0x3700, v0
                                        ; implicit-def: $vgpr113_vgpr114
	v_cmp_gt_u32_e64 s56, s29, v5
	s_and_saveexec_b32 s0, s56
	s_cbranch_execz .LBB17_119
; %bb.118:
	v_add_co_u32 v5, vcc_lo, 0x1b800, v1
	v_add_co_ci_u32_e32 v6, vcc_lo, 0, v2, vcc_lo
	global_load_dwordx2 v[113:114], v[5:6], off
	s_waitcnt vmcnt(0)
	v_and_b32_e32 v114, 0x7fffffff, v114
.LBB17_119:
	s_or_b32 exec_lo, exec_lo, s0
	v_or_b32_e32 v5, 0x3800, v0
                                        ; implicit-def: $vgpr115_vgpr116
	v_cmp_gt_u32_e64 s57, s29, v5
	s_and_saveexec_b32 s0, s57
	s_cbranch_execz .LBB17_121
; %bb.120:
	v_add_co_u32 v5, vcc_lo, 0x1c000, v1
	v_add_co_ci_u32_e32 v6, vcc_lo, 0, v2, vcc_lo
	global_load_dwordx2 v[115:116], v[5:6], off
	s_waitcnt vmcnt(0)
	v_and_b32_e32 v116, 0x7fffffff, v116
.LBB17_121:
	s_or_b32 exec_lo, exec_lo, s0
	v_or_b32_e32 v5, 0x3900, v0
                                        ; implicit-def: $vgpr117_vgpr118
	v_cmp_gt_u32_e64 s58, s29, v5
	s_and_saveexec_b32 s0, s58
	s_cbranch_execz .LBB17_123
; %bb.122:
	v_add_co_u32 v5, vcc_lo, 0x1c800, v1
	v_add_co_ci_u32_e32 v6, vcc_lo, 0, v2, vcc_lo
	global_load_dwordx2 v[117:118], v[5:6], off
	s_waitcnt vmcnt(0)
	v_and_b32_e32 v118, 0x7fffffff, v118
.LBB17_123:
	s_or_b32 exec_lo, exec_lo, s0
	v_or_b32_e32 v5, 0x3a00, v0
                                        ; implicit-def: $vgpr119_vgpr120
	v_cmp_gt_u32_e64 s59, s29, v5
	s_and_saveexec_b32 s0, s59
	s_cbranch_execz .LBB17_125
; %bb.124:
	v_add_co_u32 v5, vcc_lo, 0x1d000, v1
	v_add_co_ci_u32_e32 v6, vcc_lo, 0, v2, vcc_lo
	global_load_dwordx2 v[119:120], v[5:6], off
	s_waitcnt vmcnt(0)
	v_and_b32_e32 v120, 0x7fffffff, v120
.LBB17_125:
	s_or_b32 exec_lo, exec_lo, s0
	v_or_b32_e32 v5, 0x3b00, v0
                                        ; implicit-def: $vgpr121_vgpr122
	v_cmp_gt_u32_e64 s60, s29, v5
	s_and_saveexec_b32 s0, s60
	s_cbranch_execz .LBB17_127
; %bb.126:
	v_add_co_u32 v5, vcc_lo, 0x1d800, v1
	v_add_co_ci_u32_e32 v6, vcc_lo, 0, v2, vcc_lo
	global_load_dwordx2 v[121:122], v[5:6], off
	s_waitcnt vmcnt(0)
	v_and_b32_e32 v122, 0x7fffffff, v122
.LBB17_127:
	s_or_b32 exec_lo, exec_lo, s0
	v_or_b32_e32 v5, 0x3c00, v0
                                        ; implicit-def: $vgpr123_vgpr124
	v_cmp_gt_u32_e64 s61, s29, v5
	s_and_saveexec_b32 s0, s61
	s_cbranch_execz .LBB17_129
; %bb.128:
	v_add_co_u32 v5, vcc_lo, 0x1e000, v1
	v_add_co_ci_u32_e32 v6, vcc_lo, 0, v2, vcc_lo
	global_load_dwordx2 v[123:124], v[5:6], off
	s_waitcnt vmcnt(0)
	v_and_b32_e32 v124, 0x7fffffff, v124
.LBB17_129:
	s_or_b32 exec_lo, exec_lo, s0
	v_or_b32_e32 v5, 0x3d00, v0
                                        ; implicit-def: $vgpr125_vgpr126
	v_cmp_gt_u32_e64 s62, s29, v5
	s_and_saveexec_b32 s0, s62
	s_cbranch_execz .LBB17_131
; %bb.130:
	v_add_co_u32 v5, vcc_lo, 0x1e800, v1
	v_add_co_ci_u32_e32 v6, vcc_lo, 0, v2, vcc_lo
	global_load_dwordx2 v[125:126], v[5:6], off
	s_waitcnt vmcnt(0)
	v_and_b32_e32 v126, 0x7fffffff, v126
.LBB17_131:
	s_or_b32 exec_lo, exec_lo, s0
	v_or_b32_e32 v5, 0x3e00, v0
                                        ; implicit-def: $vgpr127_vgpr128
	v_cmp_gt_u32_e64 s63, s29, v5
	s_and_saveexec_b32 s0, s63
	s_cbranch_execz .LBB17_133
; %bb.132:
	v_add_co_u32 v5, vcc_lo, 0x1f000, v1
	v_add_co_ci_u32_e32 v6, vcc_lo, 0, v2, vcc_lo
	global_load_dwordx2 v[127:128], v[5:6], off
	s_waitcnt vmcnt(0)
	v_and_b32_e32 v128, 0x7fffffff, v128
.LBB17_133:
	s_or_b32 exec_lo, exec_lo, s0
	v_or_b32_e32 v5, 0x3f00, v0
                                        ; implicit-def: $vgpr129_vgpr130
	v_cmp_gt_u32_e64 s64, s29, v5
	s_and_saveexec_b32 s0, s64
	s_cbranch_execz .LBB17_135
; %bb.134:
	v_add_co_u32 v5, vcc_lo, 0x1f800, v1
	v_add_co_ci_u32_e32 v6, vcc_lo, 0, v2, vcc_lo
	global_load_dwordx2 v[129:130], v[5:6], off
	s_waitcnt vmcnt(0)
	v_and_b32_e32 v130, 0x7fffffff, v130
.LBB17_135:
	s_or_b32 exec_lo, exec_lo, s0
	v_or_b32_e32 v5, 0x4000, v0
                                        ; implicit-def: $vgpr131_vgpr132
	v_cmp_gt_u32_e64 s65, s29, v5
	s_and_saveexec_b32 s0, s65
	s_cbranch_execz .LBB17_137
; %bb.136:
	v_add_co_u32 v5, vcc_lo, 0x20000, v1
	v_add_co_ci_u32_e32 v6, vcc_lo, 0, v2, vcc_lo
	global_load_dwordx2 v[131:132], v[5:6], off
	s_waitcnt vmcnt(0)
	v_and_b32_e32 v132, 0x7fffffff, v132
.LBB17_137:
	s_or_b32 exec_lo, exec_lo, s0
	v_or_b32_e32 v5, 0x4100, v0
                                        ; implicit-def: $vgpr133_vgpr134
	v_cmp_gt_u32_e64 s66, s29, v5
	s_and_saveexec_b32 s0, s66
	s_cbranch_execz .LBB17_139
; %bb.138:
	v_add_co_u32 v5, vcc_lo, 0x20800, v1
	v_add_co_ci_u32_e32 v6, vcc_lo, 0, v2, vcc_lo
	global_load_dwordx2 v[133:134], v[5:6], off
	s_waitcnt vmcnt(0)
	v_and_b32_e32 v134, 0x7fffffff, v134
.LBB17_139:
	s_or_b32 exec_lo, exec_lo, s0
	v_or_b32_e32 v5, 0x4200, v0
                                        ; implicit-def: $vgpr135_vgpr136
	v_cmp_gt_u32_e64 s67, s29, v5
	s_and_saveexec_b32 s0, s67
	s_cbranch_execz .LBB17_141
; %bb.140:
	v_add_co_u32 v5, vcc_lo, 0x21000, v1
	v_add_co_ci_u32_e32 v6, vcc_lo, 0, v2, vcc_lo
	global_load_dwordx2 v[135:136], v[5:6], off
	s_waitcnt vmcnt(0)
	v_and_b32_e32 v136, 0x7fffffff, v136
.LBB17_141:
	s_or_b32 exec_lo, exec_lo, s0
	v_or_b32_e32 v5, 0x4300, v0
                                        ; implicit-def: $vgpr137_vgpr138
	v_cmp_gt_u32_e64 s68, s29, v5
	s_and_saveexec_b32 s0, s68
	s_cbranch_execz .LBB17_143
; %bb.142:
	v_add_co_u32 v5, vcc_lo, 0x21800, v1
	v_add_co_ci_u32_e32 v6, vcc_lo, 0, v2, vcc_lo
	global_load_dwordx2 v[137:138], v[5:6], off
	s_waitcnt vmcnt(0)
	v_and_b32_e32 v138, 0x7fffffff, v138
.LBB17_143:
	s_or_b32 exec_lo, exec_lo, s0
	v_or_b32_e32 v5, 0x4400, v0
                                        ; implicit-def: $vgpr139_vgpr140
	v_cmp_gt_u32_e64 s69, s29, v5
	s_and_saveexec_b32 s0, s69
	s_cbranch_execz .LBB17_145
; %bb.144:
	v_add_co_u32 v5, vcc_lo, 0x22000, v1
	v_add_co_ci_u32_e32 v6, vcc_lo, 0, v2, vcc_lo
	global_load_dwordx2 v[139:140], v[5:6], off
	s_waitcnt vmcnt(0)
	v_and_b32_e32 v140, 0x7fffffff, v140
.LBB17_145:
	s_or_b32 exec_lo, exec_lo, s0
	v_or_b32_e32 v5, 0x4500, v0
                                        ; implicit-def: $vgpr141_vgpr142
	v_cmp_gt_u32_e64 s70, s29, v5
	s_and_saveexec_b32 s0, s70
	s_cbranch_execz .LBB17_147
; %bb.146:
	v_add_co_u32 v5, vcc_lo, 0x22800, v1
	v_add_co_ci_u32_e32 v6, vcc_lo, 0, v2, vcc_lo
	global_load_dwordx2 v[141:142], v[5:6], off
	s_waitcnt vmcnt(0)
	v_and_b32_e32 v142, 0x7fffffff, v142
.LBB17_147:
	s_or_b32 exec_lo, exec_lo, s0
	v_or_b32_e32 v5, 0x4600, v0
                                        ; implicit-def: $vgpr143_vgpr144
	v_cmp_gt_u32_e64 s71, s29, v5
	s_and_saveexec_b32 s0, s71
	s_cbranch_execz .LBB17_149
; %bb.148:
	v_add_co_u32 v5, vcc_lo, 0x23000, v1
	v_add_co_ci_u32_e32 v6, vcc_lo, 0, v2, vcc_lo
	global_load_dwordx2 v[143:144], v[5:6], off
	s_waitcnt vmcnt(0)
	v_and_b32_e32 v144, 0x7fffffff, v144
.LBB17_149:
	s_or_b32 exec_lo, exec_lo, s0
	v_or_b32_e32 v5, 0x4700, v0
                                        ; implicit-def: $vgpr145_vgpr146
	v_cmp_gt_u32_e64 s72, s29, v5
	s_and_saveexec_b32 s0, s72
	s_cbranch_execz .LBB17_151
; %bb.150:
	v_add_co_u32 v5, vcc_lo, 0x23800, v1
	v_add_co_ci_u32_e32 v6, vcc_lo, 0, v2, vcc_lo
	global_load_dwordx2 v[145:146], v[5:6], off
	s_waitcnt vmcnt(0)
	v_and_b32_e32 v146, 0x7fffffff, v146
.LBB17_151:
	s_or_b32 exec_lo, exec_lo, s0
	v_or_b32_e32 v5, 0x4800, v0
                                        ; implicit-def: $vgpr147_vgpr148
	v_cmp_gt_u32_e64 s73, s29, v5
	s_and_saveexec_b32 s0, s73
	s_cbranch_execz .LBB17_153
; %bb.152:
	v_add_co_u32 v5, vcc_lo, 0x24000, v1
	v_add_co_ci_u32_e32 v6, vcc_lo, 0, v2, vcc_lo
	global_load_dwordx2 v[147:148], v[5:6], off
	s_waitcnt vmcnt(0)
	v_and_b32_e32 v148, 0x7fffffff, v148
.LBB17_153:
	s_or_b32 exec_lo, exec_lo, s0
	v_or_b32_e32 v5, 0x4900, v0
                                        ; implicit-def: $vgpr149_vgpr150
	v_cmp_gt_u32_e64 s74, s29, v5
	s_and_saveexec_b32 s0, s74
	s_cbranch_execz .LBB17_155
; %bb.154:
	v_add_co_u32 v5, vcc_lo, 0x24800, v1
	v_add_co_ci_u32_e32 v6, vcc_lo, 0, v2, vcc_lo
	global_load_dwordx2 v[149:150], v[5:6], off
	s_waitcnt vmcnt(0)
	v_and_b32_e32 v150, 0x7fffffff, v150
.LBB17_155:
	s_or_b32 exec_lo, exec_lo, s0
	v_or_b32_e32 v5, 0x4a00, v0
                                        ; implicit-def: $vgpr151_vgpr152
	v_cmp_gt_u32_e64 s75, s29, v5
	s_and_saveexec_b32 s0, s75
	s_cbranch_execz .LBB17_157
; %bb.156:
	v_add_co_u32 v5, vcc_lo, 0x25000, v1
	v_add_co_ci_u32_e32 v6, vcc_lo, 0, v2, vcc_lo
	global_load_dwordx2 v[151:152], v[5:6], off
	s_waitcnt vmcnt(0)
	v_and_b32_e32 v152, 0x7fffffff, v152
.LBB17_157:
	s_or_b32 exec_lo, exec_lo, s0
	v_or_b32_e32 v5, 0x4b00, v0
                                        ; implicit-def: $vgpr153_vgpr154
	v_cmp_gt_u32_e64 s76, s29, v5
	s_and_saveexec_b32 s0, s76
	s_cbranch_execz .LBB17_159
; %bb.158:
	v_add_co_u32 v5, vcc_lo, 0x25800, v1
	v_add_co_ci_u32_e32 v6, vcc_lo, 0, v2, vcc_lo
	global_load_dwordx2 v[153:154], v[5:6], off
	s_waitcnt vmcnt(0)
	v_and_b32_e32 v154, 0x7fffffff, v154
.LBB17_159:
	s_or_b32 exec_lo, exec_lo, s0
	v_or_b32_e32 v5, 0x4c00, v0
                                        ; implicit-def: $vgpr155_vgpr156
	v_cmp_gt_u32_e64 s77, s29, v5
	s_and_saveexec_b32 s0, s77
	s_cbranch_execz .LBB17_161
; %bb.160:
	v_add_co_u32 v5, vcc_lo, 0x26000, v1
	v_add_co_ci_u32_e32 v6, vcc_lo, 0, v2, vcc_lo
	global_load_dwordx2 v[155:156], v[5:6], off
	s_waitcnt vmcnt(0)
	v_and_b32_e32 v156, 0x7fffffff, v156
.LBB17_161:
	s_or_b32 exec_lo, exec_lo, s0
	v_or_b32_e32 v5, 0x4d00, v0
                                        ; implicit-def: $vgpr157_vgpr158
	v_cmp_gt_u32_e64 s78, s29, v5
	s_and_saveexec_b32 s0, s78
	s_cbranch_execz .LBB17_163
; %bb.162:
	v_add_co_u32 v5, vcc_lo, 0x26800, v1
	v_add_co_ci_u32_e32 v6, vcc_lo, 0, v2, vcc_lo
	global_load_dwordx2 v[157:158], v[5:6], off
	s_waitcnt vmcnt(0)
	v_and_b32_e32 v158, 0x7fffffff, v158
.LBB17_163:
	s_or_b32 exec_lo, exec_lo, s0
	v_or_b32_e32 v5, 0x4e00, v0
                                        ; implicit-def: $vgpr159_vgpr160
	v_cmp_gt_u32_e64 s79, s29, v5
	s_and_saveexec_b32 s0, s79
	s_cbranch_execz .LBB17_165
; %bb.164:
	v_add_co_u32 v5, vcc_lo, 0x27000, v1
	v_add_co_ci_u32_e32 v6, vcc_lo, 0, v2, vcc_lo
	global_load_dwordx2 v[159:160], v[5:6], off
	s_waitcnt vmcnt(0)
	v_and_b32_e32 v160, 0x7fffffff, v160
.LBB17_165:
	s_or_b32 exec_lo, exec_lo, s0
	v_or_b32_e32 v5, 0x4f00, v0
                                        ; implicit-def: $vgpr161_vgpr162
	v_cmp_gt_u32_e64 s80, s29, v5
	s_and_saveexec_b32 s0, s80
	s_cbranch_execz .LBB17_167
; %bb.166:
	v_add_co_u32 v5, vcc_lo, 0x27800, v1
	v_add_co_ci_u32_e32 v6, vcc_lo, 0, v2, vcc_lo
	global_load_dwordx2 v[161:162], v[5:6], off
	s_waitcnt vmcnt(0)
	v_and_b32_e32 v162, 0x7fffffff, v162
.LBB17_167:
	s_or_b32 exec_lo, exec_lo, s0
	v_or_b32_e32 v5, 0x5000, v0
                                        ; implicit-def: $vgpr163_vgpr164
	v_cmp_gt_u32_e64 s81, s29, v5
	s_and_saveexec_b32 s0, s81
	s_cbranch_execz .LBB17_169
; %bb.168:
	v_add_co_u32 v5, vcc_lo, 0x28000, v1
	v_add_co_ci_u32_e32 v6, vcc_lo, 0, v2, vcc_lo
	global_load_dwordx2 v[163:164], v[5:6], off
	s_waitcnt vmcnt(0)
	v_and_b32_e32 v164, 0x7fffffff, v164
.LBB17_169:
	s_or_b32 exec_lo, exec_lo, s0
	v_or_b32_e32 v5, 0x5100, v0
                                        ; implicit-def: $vgpr165_vgpr166
	v_cmp_gt_u32_e64 s82, s29, v5
	s_and_saveexec_b32 s0, s82
	s_cbranch_execz .LBB17_171
; %bb.170:
	v_add_co_u32 v5, vcc_lo, 0x28800, v1
	v_add_co_ci_u32_e32 v6, vcc_lo, 0, v2, vcc_lo
	global_load_dwordx2 v[165:166], v[5:6], off
	s_waitcnt vmcnt(0)
	v_and_b32_e32 v166, 0x7fffffff, v166
.LBB17_171:
	s_or_b32 exec_lo, exec_lo, s0
	v_or_b32_e32 v5, 0x5200, v0
                                        ; implicit-def: $vgpr167_vgpr168
	v_cmp_gt_u32_e64 s83, s29, v5
	s_and_saveexec_b32 s0, s83
	s_cbranch_execz .LBB17_173
; %bb.172:
	v_add_co_u32 v5, vcc_lo, 0x29000, v1
	v_add_co_ci_u32_e32 v6, vcc_lo, 0, v2, vcc_lo
	global_load_dwordx2 v[167:168], v[5:6], off
	s_waitcnt vmcnt(0)
	v_and_b32_e32 v168, 0x7fffffff, v168
.LBB17_173:
	s_or_b32 exec_lo, exec_lo, s0
	v_or_b32_e32 v5, 0x5300, v0
                                        ; implicit-def: $vgpr169_vgpr170
	v_cmp_gt_u32_e64 s84, s29, v5
	s_and_saveexec_b32 s0, s84
	s_cbranch_execz .LBB17_175
; %bb.174:
	v_add_co_u32 v5, vcc_lo, 0x29800, v1
	v_add_co_ci_u32_e32 v6, vcc_lo, 0, v2, vcc_lo
	global_load_dwordx2 v[169:170], v[5:6], off
	s_waitcnt vmcnt(0)
	v_and_b32_e32 v170, 0x7fffffff, v170
.LBB17_175:
	s_or_b32 exec_lo, exec_lo, s0
	v_or_b32_e32 v5, 0x5400, v0
                                        ; implicit-def: $vgpr171_vgpr172
	v_cmp_gt_u32_e64 s85, s29, v5
	s_and_saveexec_b32 s0, s85
	s_cbranch_execz .LBB17_177
; %bb.176:
	v_add_co_u32 v5, vcc_lo, 0x2a000, v1
	v_add_co_ci_u32_e32 v6, vcc_lo, 0, v2, vcc_lo
	global_load_dwordx2 v[171:172], v[5:6], off
	s_waitcnt vmcnt(0)
	v_and_b32_e32 v172, 0x7fffffff, v172
.LBB17_177:
	s_or_b32 exec_lo, exec_lo, s0
	v_or_b32_e32 v5, 0x5500, v0
                                        ; implicit-def: $vgpr173_vgpr174
	v_cmp_gt_u32_e64 s86, s29, v5
	s_and_saveexec_b32 s0, s86
	s_cbranch_execz .LBB17_179
; %bb.178:
	v_add_co_u32 v5, vcc_lo, 0x2a800, v1
	v_add_co_ci_u32_e32 v6, vcc_lo, 0, v2, vcc_lo
	global_load_dwordx2 v[173:174], v[5:6], off
	s_waitcnt vmcnt(0)
	v_and_b32_e32 v174, 0x7fffffff, v174
.LBB17_179:
	s_or_b32 exec_lo, exec_lo, s0
	v_or_b32_e32 v5, 0x5600, v0
                                        ; implicit-def: $vgpr175_vgpr176
	v_cmp_gt_u32_e64 s87, s29, v5
	s_and_saveexec_b32 s0, s87
	s_cbranch_execz .LBB17_181
; %bb.180:
	v_add_co_u32 v5, vcc_lo, 0x2b000, v1
	v_add_co_ci_u32_e32 v6, vcc_lo, 0, v2, vcc_lo
	global_load_dwordx2 v[175:176], v[5:6], off
	s_waitcnt vmcnt(0)
	v_and_b32_e32 v176, 0x7fffffff, v176
.LBB17_181:
	s_or_b32 exec_lo, exec_lo, s0
	v_or_b32_e32 v5, 0x5700, v0
                                        ; implicit-def: $vgpr177_vgpr178
	v_cmp_gt_u32_e64 s88, s29, v5
	s_and_saveexec_b32 s0, s88
	s_cbranch_execz .LBB17_183
; %bb.182:
	v_add_co_u32 v5, vcc_lo, 0x2b800, v1
	v_add_co_ci_u32_e32 v6, vcc_lo, 0, v2, vcc_lo
	global_load_dwordx2 v[177:178], v[5:6], off
	s_waitcnt vmcnt(0)
	v_and_b32_e32 v178, 0x7fffffff, v178
.LBB17_183:
	s_or_b32 exec_lo, exec_lo, s0
	v_or_b32_e32 v5, 0x5800, v0
                                        ; implicit-def: $vgpr179_vgpr180
	v_cmp_gt_u32_e64 s89, s29, v5
	s_and_saveexec_b32 s0, s89
	s_cbranch_execz .LBB17_185
; %bb.184:
	v_add_co_u32 v5, vcc_lo, 0x2c000, v1
	v_add_co_ci_u32_e32 v6, vcc_lo, 0, v2, vcc_lo
	global_load_dwordx2 v[179:180], v[5:6], off
	s_waitcnt vmcnt(0)
	v_and_b32_e32 v180, 0x7fffffff, v180
.LBB17_185:
	s_or_b32 exec_lo, exec_lo, s0
	v_or_b32_e32 v5, 0x5900, v0
                                        ; implicit-def: $vgpr181_vgpr182
	v_cmp_gt_u32_e64 s90, s29, v5
	s_and_saveexec_b32 s0, s90
	s_cbranch_execz .LBB17_187
; %bb.186:
	v_add_co_u32 v5, vcc_lo, 0x2c800, v1
	v_add_co_ci_u32_e32 v6, vcc_lo, 0, v2, vcc_lo
	global_load_dwordx2 v[181:182], v[5:6], off
	s_waitcnt vmcnt(0)
	v_and_b32_e32 v182, 0x7fffffff, v182
.LBB17_187:
	s_or_b32 exec_lo, exec_lo, s0
	v_or_b32_e32 v5, 0x5a00, v0
                                        ; implicit-def: $vgpr183_vgpr184
	v_cmp_gt_u32_e64 s91, s29, v5
	s_and_saveexec_b32 s0, s91
	s_cbranch_execz .LBB17_189
; %bb.188:
	v_add_co_u32 v5, vcc_lo, 0x2d000, v1
	v_add_co_ci_u32_e32 v6, vcc_lo, 0, v2, vcc_lo
	global_load_dwordx2 v[183:184], v[5:6], off
	s_waitcnt vmcnt(0)
	v_and_b32_e32 v184, 0x7fffffff, v184
.LBB17_189:
	s_or_b32 exec_lo, exec_lo, s0
	v_or_b32_e32 v5, 0x5b00, v0
                                        ; implicit-def: $vgpr185_vgpr186
	v_cmp_gt_u32_e64 s92, s29, v5
	s_and_saveexec_b32 s0, s92
	s_cbranch_execz .LBB17_191
; %bb.190:
	v_add_co_u32 v5, vcc_lo, 0x2d800, v1
	v_add_co_ci_u32_e32 v6, vcc_lo, 0, v2, vcc_lo
	global_load_dwordx2 v[185:186], v[5:6], off
	s_waitcnt vmcnt(0)
	v_and_b32_e32 v186, 0x7fffffff, v186
.LBB17_191:
	s_or_b32 exec_lo, exec_lo, s0
	v_or_b32_e32 v5, 0x5c00, v0
                                        ; implicit-def: $vgpr187_vgpr188
	v_cmp_gt_u32_e64 s93, s29, v5
	s_and_saveexec_b32 s0, s93
	s_cbranch_execz .LBB17_193
; %bb.192:
	v_add_co_u32 v5, vcc_lo, 0x2e000, v1
	v_add_co_ci_u32_e32 v6, vcc_lo, 0, v2, vcc_lo
	global_load_dwordx2 v[187:188], v[5:6], off
	s_waitcnt vmcnt(0)
	v_and_b32_e32 v188, 0x7fffffff, v188
.LBB17_193:
	s_or_b32 exec_lo, exec_lo, s0
	v_or_b32_e32 v5, 0x5d00, v0
                                        ; implicit-def: $vgpr189_vgpr190
	v_cmp_gt_u32_e64 s94, s29, v5
	s_and_saveexec_b32 s0, s94
	s_cbranch_execz .LBB17_195
; %bb.194:
	v_add_co_u32 v5, vcc_lo, 0x2e800, v1
	v_add_co_ci_u32_e32 v6, vcc_lo, 0, v2, vcc_lo
	global_load_dwordx2 v[189:190], v[5:6], off
	s_waitcnt vmcnt(0)
	v_and_b32_e32 v190, 0x7fffffff, v190
.LBB17_195:
	s_or_b32 exec_lo, exec_lo, s0
	v_or_b32_e32 v5, 0x5e00, v0
                                        ; implicit-def: $vgpr191_vgpr192
	v_cmp_gt_u32_e64 s95, s29, v5
	s_and_saveexec_b32 s0, s95
	s_cbranch_execz .LBB17_197
; %bb.196:
	v_add_co_u32 v5, vcc_lo, 0x2f000, v1
	v_add_co_ci_u32_e32 v6, vcc_lo, 0, v2, vcc_lo
	global_load_dwordx2 v[191:192], v[5:6], off
	s_waitcnt vmcnt(0)
	v_and_b32_e32 v192, 0x7fffffff, v192
.LBB17_197:
	s_or_b32 exec_lo, exec_lo, s0
	v_or_b32_e32 v5, 0x5f00, v0
                                        ; implicit-def: $vgpr193_vgpr194
	v_cmp_gt_u32_e64 s96, s29, v5
	s_and_saveexec_b32 s0, s96
	s_cbranch_execz .LBB17_199
; %bb.198:
	v_add_co_u32 v5, vcc_lo, 0x2f800, v1
	v_add_co_ci_u32_e32 v6, vcc_lo, 0, v2, vcc_lo
	global_load_dwordx2 v[193:194], v[5:6], off
	s_waitcnt vmcnt(0)
	v_and_b32_e32 v194, 0x7fffffff, v194
.LBB17_199:
	s_or_b32 exec_lo, exec_lo, s0
	v_or_b32_e32 v5, 0x6000, v0
                                        ; implicit-def: $vgpr195_vgpr196
	v_cmp_gt_u32_e64 s97, s29, v5
	s_and_saveexec_b32 s0, s97
	s_cbranch_execz .LBB17_201
; %bb.200:
	v_add_co_u32 v5, vcc_lo, 0x30000, v1
	v_add_co_ci_u32_e32 v6, vcc_lo, 0, v2, vcc_lo
	global_load_dwordx2 v[195:196], v[5:6], off
	s_waitcnt vmcnt(0)
	v_and_b32_e32 v196, 0x7fffffff, v196
.LBB17_201:
	s_or_b32 exec_lo, exec_lo, s0
	v_or_b32_e32 v5, 0x6100, v0
                                        ; implicit-def: $vgpr197_vgpr198
	v_cmp_gt_u32_e64 s98, s29, v5
	s_and_saveexec_b32 s0, s98
	s_cbranch_execz .LBB17_203
; %bb.202:
	v_add_co_u32 v5, vcc_lo, 0x30800, v1
	v_add_co_ci_u32_e32 v6, vcc_lo, 0, v2, vcc_lo
	global_load_dwordx2 v[197:198], v[5:6], off
	s_waitcnt vmcnt(0)
	v_and_b32_e32 v198, 0x7fffffff, v198
.LBB17_203:
	s_or_b32 exec_lo, exec_lo, s0
	v_or_b32_e32 v5, 0x6200, v0
                                        ; implicit-def: $vgpr199_vgpr200
	v_cmp_gt_u32_e64 s99, s29, v5
	s_and_saveexec_b32 s0, s99
	s_cbranch_execz .LBB17_205
; %bb.204:
	v_add_co_u32 v5, vcc_lo, 0x31000, v1
	v_add_co_ci_u32_e32 v6, vcc_lo, 0, v2, vcc_lo
	global_load_dwordx2 v[199:200], v[5:6], off
	s_waitcnt vmcnt(0)
	v_and_b32_e32 v200, 0x7fffffff, v200
.LBB17_205:
	s_or_b32 exec_lo, exec_lo, s0
	v_or_b32_e32 v5, 0x6300, v0
                                        ; implicit-def: $vgpr201_vgpr202
	v_cmp_gt_u32_e64 s104, s29, v5
	s_and_saveexec_b32 s0, s104
	s_cbranch_execz .LBB17_207
; %bb.206:
	v_add_co_u32 v5, vcc_lo, 0x31800, v1
	v_add_co_ci_u32_e32 v6, vcc_lo, 0, v2, vcc_lo
	global_load_dwordx2 v[201:202], v[5:6], off
	s_waitcnt vmcnt(0)
	v_and_b32_e32 v202, 0x7fffffff, v202
.LBB17_207:
	s_or_b32 exec_lo, exec_lo, s0
	v_or_b32_e32 v5, 0x6400, v0
                                        ; implicit-def: $vgpr203_vgpr204
	v_cmp_gt_u32_e64 vcc_hi, s29, v5
	s_and_saveexec_b32 s0, vcc_hi
	s_cbranch_execz .LBB17_209
; %bb.208:
	v_add_co_u32 v5, vcc_lo, 0x32000, v1
	v_add_co_ci_u32_e32 v6, vcc_lo, 0, v2, vcc_lo
	global_load_dwordx2 v[203:204], v[5:6], off
	s_waitcnt vmcnt(0)
	v_and_b32_e32 v204, 0x7fffffff, v204
.LBB17_209:
	s_or_b32 exec_lo, exec_lo, s0
	v_or_b32_e32 v5, 0x6500, v0
                                        ; implicit-def: $vgpr205_vgpr206
	v_cmp_gt_u32_e64 s0, s29, v5
	s_and_saveexec_b32 s1, s0
	s_cbranch_execz .LBB17_211
; %bb.210:
	v_add_co_u32 v5, vcc_lo, 0x32800, v1
	v_add_co_ci_u32_e32 v6, vcc_lo, 0, v2, vcc_lo
	global_load_dwordx2 v[205:206], v[5:6], off
	s_waitcnt vmcnt(0)
	v_and_b32_e32 v206, 0x7fffffff, v206
.LBB17_211:
	s_or_b32 exec_lo, exec_lo, s1
	v_or_b32_e32 v5, 0x6600, v0
                                        ; implicit-def: $vgpr207_vgpr208
	v_cmp_gt_u32_e64 s1, s29, v5
	s_and_saveexec_b32 s2, s1
	s_cbranch_execz .LBB17_213
; %bb.212:
	v_add_co_u32 v5, vcc_lo, 0x33000, v1
	v_add_co_ci_u32_e32 v6, vcc_lo, 0, v2, vcc_lo
	global_load_dwordx2 v[207:208], v[5:6], off
	s_waitcnt vmcnt(0)
	v_and_b32_e32 v208, 0x7fffffff, v208
.LBB17_213:
	s_or_b32 exec_lo, exec_lo, s2
	v_or_b32_e32 v5, 0x6700, v0
                                        ; implicit-def: $vgpr209_vgpr210
	v_cmp_gt_u32_e64 s2, s29, v5
	s_and_saveexec_b32 s3, s2
	s_cbranch_execz .LBB17_215
; %bb.214:
	v_add_co_u32 v5, vcc_lo, 0x33800, v1
	v_add_co_ci_u32_e32 v6, vcc_lo, 0, v2, vcc_lo
	global_load_dwordx2 v[209:210], v[5:6], off
	s_waitcnt vmcnt(0)
	v_and_b32_e32 v210, 0x7fffffff, v210
.LBB17_215:
	s_or_b32 exec_lo, exec_lo, s3
	v_or_b32_e32 v5, 0x6800, v0
                                        ; implicit-def: $vgpr211_vgpr212
	v_cmp_gt_u32_e64 s3, s29, v5
	s_and_saveexec_b32 s4, s3
	s_cbranch_execz .LBB17_217
; %bb.216:
	v_add_co_u32 v5, vcc_lo, 0x34000, v1
	v_add_co_ci_u32_e32 v6, vcc_lo, 0, v2, vcc_lo
	global_load_dwordx2 v[211:212], v[5:6], off
	s_waitcnt vmcnt(0)
	v_and_b32_e32 v212, 0x7fffffff, v212
.LBB17_217:
	s_or_b32 exec_lo, exec_lo, s4
	v_or_b32_e32 v5, 0x6900, v0
                                        ; implicit-def: $vgpr213_vgpr214
	v_cmp_gt_u32_e64 s4, s29, v5
	s_and_saveexec_b32 s5, s4
	s_cbranch_execz .LBB17_219
; %bb.218:
	v_add_co_u32 v5, vcc_lo, 0x34800, v1
	v_add_co_ci_u32_e32 v6, vcc_lo, 0, v2, vcc_lo
	global_load_dwordx2 v[213:214], v[5:6], off
	s_waitcnt vmcnt(0)
	v_and_b32_e32 v214, 0x7fffffff, v214
.LBB17_219:
	s_or_b32 exec_lo, exec_lo, s5
	v_or_b32_e32 v5, 0x6a00, v0
                                        ; implicit-def: $vgpr215_vgpr216
	v_cmp_gt_u32_e64 s5, s29, v5
	s_and_saveexec_b32 s8, s5
	s_cbranch_execz .LBB17_221
; %bb.220:
	v_add_co_u32 v5, vcc_lo, 0x35000, v1
	v_add_co_ci_u32_e32 v6, vcc_lo, 0, v2, vcc_lo
	global_load_dwordx2 v[215:216], v[5:6], off
	s_waitcnt vmcnt(0)
	v_and_b32_e32 v216, 0x7fffffff, v216
.LBB17_221:
	s_or_b32 exec_lo, exec_lo, s8
	v_or_b32_e32 v5, 0x6b00, v0
                                        ; implicit-def: $vgpr217_vgpr218
	v_cmp_gt_u32_e64 s8, s29, v5
	s_and_saveexec_b32 s9, s8
	s_cbranch_execz .LBB17_223
; %bb.222:
	v_add_co_u32 v5, vcc_lo, 0x35800, v1
	v_add_co_ci_u32_e32 v6, vcc_lo, 0, v2, vcc_lo
	global_load_dwordx2 v[217:218], v[5:6], off
	s_waitcnt vmcnt(0)
	v_and_b32_e32 v218, 0x7fffffff, v218
.LBB17_223:
	s_or_b32 exec_lo, exec_lo, s9
	v_or_b32_e32 v5, 0x6c00, v0
                                        ; implicit-def: $vgpr219_vgpr220
	v_cmp_gt_u32_e64 s9, s29, v5
	s_and_saveexec_b32 s10, s9
	s_cbranch_execz .LBB17_225
; %bb.224:
	v_add_co_u32 v5, vcc_lo, 0x36000, v1
	v_add_co_ci_u32_e32 v6, vcc_lo, 0, v2, vcc_lo
	global_load_dwordx2 v[219:220], v[5:6], off
	s_waitcnt vmcnt(0)
	v_and_b32_e32 v220, 0x7fffffff, v220
.LBB17_225:
	s_or_b32 exec_lo, exec_lo, s10
	v_or_b32_e32 v5, 0x6d00, v0
                                        ; implicit-def: $vgpr221_vgpr222
	v_cmp_gt_u32_e64 s10, s29, v5
	s_and_saveexec_b32 s11, s10
	s_cbranch_execz .LBB17_227
; %bb.226:
	v_add_co_u32 v5, vcc_lo, 0x36800, v1
	v_add_co_ci_u32_e32 v6, vcc_lo, 0, v2, vcc_lo
	global_load_dwordx2 v[221:222], v[5:6], off
	s_waitcnt vmcnt(0)
	v_and_b32_e32 v222, 0x7fffffff, v222
.LBB17_227:
	s_or_b32 exec_lo, exec_lo, s11
	v_or_b32_e32 v5, 0x6e00, v0
                                        ; implicit-def: $vgpr223_vgpr224
	v_cmp_gt_u32_e64 s11, s29, v5
	s_and_saveexec_b32 s12, s11
	s_cbranch_execz .LBB17_229
; %bb.228:
	v_add_co_u32 v5, vcc_lo, 0x37000, v1
	v_add_co_ci_u32_e32 v6, vcc_lo, 0, v2, vcc_lo
	global_load_dwordx2 v[223:224], v[5:6], off
	s_waitcnt vmcnt(0)
	v_and_b32_e32 v224, 0x7fffffff, v224
.LBB17_229:
	s_or_b32 exec_lo, exec_lo, s12
	v_or_b32_e32 v5, 0x6f00, v0
                                        ; implicit-def: $vgpr225_vgpr226
	v_cmp_gt_u32_e64 s12, s29, v5
	s_and_saveexec_b32 s13, s12
	s_cbranch_execz .LBB17_231
; %bb.230:
	v_add_co_u32 v5, vcc_lo, 0x37800, v1
	v_add_co_ci_u32_e32 v6, vcc_lo, 0, v2, vcc_lo
	global_load_dwordx2 v[225:226], v[5:6], off
	s_waitcnt vmcnt(0)
	v_and_b32_e32 v226, 0x7fffffff, v226
.LBB17_231:
	s_or_b32 exec_lo, exec_lo, s13
	v_or_b32_e32 v5, 0x7000, v0
                                        ; implicit-def: $vgpr227_vgpr228
	v_cmp_gt_u32_e64 s13, s29, v5
	s_and_saveexec_b32 s14, s13
	s_cbranch_execz .LBB17_233
; %bb.232:
	v_add_co_u32 v5, vcc_lo, 0x38000, v1
	v_add_co_ci_u32_e32 v6, vcc_lo, 0, v2, vcc_lo
	global_load_dwordx2 v[227:228], v[5:6], off
	s_waitcnt vmcnt(0)
	v_and_b32_e32 v228, 0x7fffffff, v228
.LBB17_233:
	s_or_b32 exec_lo, exec_lo, s14
	v_or_b32_e32 v5, 0x7100, v0
                                        ; implicit-def: $vgpr229_vgpr230
	v_cmp_gt_u32_e64 s14, s29, v5
	s_and_saveexec_b32 s15, s14
	s_cbranch_execz .LBB17_235
; %bb.234:
	v_add_co_u32 v5, vcc_lo, 0x38800, v1
	v_add_co_ci_u32_e32 v6, vcc_lo, 0, v2, vcc_lo
	global_load_dwordx2 v[229:230], v[5:6], off
	s_waitcnt vmcnt(0)
	v_and_b32_e32 v230, 0x7fffffff, v230
.LBB17_235:
	s_or_b32 exec_lo, exec_lo, s15
	v_or_b32_e32 v5, 0x7200, v0
                                        ; implicit-def: $vgpr231_vgpr232
	v_cmp_gt_u32_e64 s15, s29, v5
	s_and_saveexec_b32 s16, s15
	s_cbranch_execz .LBB17_237
; %bb.236:
	v_add_co_u32 v5, vcc_lo, 0x39000, v1
	v_add_co_ci_u32_e32 v6, vcc_lo, 0, v2, vcc_lo
	global_load_dwordx2 v[231:232], v[5:6], off
	s_waitcnt vmcnt(0)
	v_and_b32_e32 v232, 0x7fffffff, v232
.LBB17_237:
	s_or_b32 exec_lo, exec_lo, s16
	v_or_b32_e32 v5, 0x7300, v0
                                        ; implicit-def: $vgpr233_vgpr234
	v_cmp_gt_u32_e64 s16, s29, v5
	s_and_saveexec_b32 s17, s16
	s_cbranch_execz .LBB17_239
; %bb.238:
	v_add_co_u32 v5, vcc_lo, 0x39800, v1
	v_add_co_ci_u32_e32 v6, vcc_lo, 0, v2, vcc_lo
	global_load_dwordx2 v[233:234], v[5:6], off
	s_waitcnt vmcnt(0)
	v_and_b32_e32 v234, 0x7fffffff, v234
.LBB17_239:
	s_or_b32 exec_lo, exec_lo, s17
	v_or_b32_e32 v5, 0x7400, v0
                                        ; implicit-def: $vgpr235_vgpr236
	v_cmp_gt_u32_e64 s17, s29, v5
	s_and_saveexec_b32 s18, s17
	s_cbranch_execz .LBB17_241
; %bb.240:
	v_add_co_u32 v5, vcc_lo, 0x3a000, v1
	v_add_co_ci_u32_e32 v6, vcc_lo, 0, v2, vcc_lo
	global_load_dwordx2 v[235:236], v[5:6], off
	s_waitcnt vmcnt(0)
	v_and_b32_e32 v236, 0x7fffffff, v236
.LBB17_241:
	s_or_b32 exec_lo, exec_lo, s18
	v_or_b32_e32 v5, 0x7500, v0
                                        ; implicit-def: $vgpr237_vgpr238
	v_cmp_gt_u32_e64 s18, s29, v5
	s_and_saveexec_b32 s19, s18
	s_cbranch_execz .LBB17_243
; %bb.242:
	v_add_co_u32 v5, vcc_lo, 0x3a800, v1
	v_add_co_ci_u32_e32 v6, vcc_lo, 0, v2, vcc_lo
	global_load_dwordx2 v[237:238], v[5:6], off
	s_waitcnt vmcnt(0)
	v_and_b32_e32 v238, 0x7fffffff, v238
.LBB17_243:
	s_or_b32 exec_lo, exec_lo, s19
	v_or_b32_e32 v5, 0x7600, v0
                                        ; implicit-def: $vgpr239_vgpr240
	v_cmp_gt_u32_e64 s19, s29, v5
	s_and_saveexec_b32 s20, s19
	s_cbranch_execz .LBB17_245
; %bb.244:
	v_add_co_u32 v5, vcc_lo, 0x3b000, v1
	v_add_co_ci_u32_e32 v6, vcc_lo, 0, v2, vcc_lo
	global_load_dwordx2 v[239:240], v[5:6], off
	s_waitcnt vmcnt(0)
	v_and_b32_e32 v240, 0x7fffffff, v240
.LBB17_245:
	s_or_b32 exec_lo, exec_lo, s20
	v_or_b32_e32 v5, 0x7700, v0
                                        ; implicit-def: $vgpr241_vgpr242
	v_cmp_gt_u32_e64 s20, s29, v5
	s_and_saveexec_b32 s21, s20
	s_cbranch_execz .LBB17_247
; %bb.246:
	v_add_co_u32 v5, vcc_lo, 0x3b800, v1
	v_add_co_ci_u32_e32 v6, vcc_lo, 0, v2, vcc_lo
	global_load_dwordx2 v[241:242], v[5:6], off
	s_waitcnt vmcnt(0)
	v_and_b32_e32 v242, 0x7fffffff, v242
.LBB17_247:
	s_or_b32 exec_lo, exec_lo, s21
	v_or_b32_e32 v5, 0x7800, v0
                                        ; implicit-def: $vgpr243_vgpr244
	v_cmp_gt_u32_e64 s21, s29, v5
	s_and_saveexec_b32 s22, s21
	s_cbranch_execz .LBB17_249
; %bb.248:
	v_add_co_u32 v5, vcc_lo, 0x3c000, v1
	v_add_co_ci_u32_e32 v6, vcc_lo, 0, v2, vcc_lo
	global_load_dwordx2 v[243:244], v[5:6], off
	s_waitcnt vmcnt(0)
	v_and_b32_e32 v244, 0x7fffffff, v244
.LBB17_249:
	s_or_b32 exec_lo, exec_lo, s22
	v_or_b32_e32 v5, 0x7900, v0
                                        ; implicit-def: $vgpr245_vgpr246
	v_cmp_gt_u32_e64 s22, s29, v5
	s_and_saveexec_b32 s23, s22
	s_cbranch_execz .LBB17_251
; %bb.250:
	v_add_co_u32 v5, vcc_lo, 0x3c800, v1
	v_add_co_ci_u32_e32 v6, vcc_lo, 0, v2, vcc_lo
	global_load_dwordx2 v[245:246], v[5:6], off
	s_waitcnt vmcnt(0)
	v_and_b32_e32 v246, 0x7fffffff, v246
.LBB17_251:
	s_or_b32 exec_lo, exec_lo, s23
	v_or_b32_e32 v5, 0x7a00, v0
                                        ; implicit-def: $vgpr247_vgpr248
	v_cmp_gt_u32_e64 s23, s29, v5
	s_and_saveexec_b32 s24, s23
	s_cbranch_execz .LBB17_253
; %bb.252:
	v_add_co_u32 v5, vcc_lo, 0x3d000, v1
	v_add_co_ci_u32_e32 v6, vcc_lo, 0, v2, vcc_lo
	global_load_dwordx2 v[247:248], v[5:6], off
	s_waitcnt vmcnt(0)
	v_and_b32_e32 v248, 0x7fffffff, v248
.LBB17_253:
	s_or_b32 exec_lo, exec_lo, s24
	v_or_b32_e32 v5, 0x7b00, v0
                                        ; implicit-def: $vgpr249_vgpr250
	v_cmp_gt_u32_e64 s24, s29, v5
	s_and_saveexec_b32 s25, s24
	s_cbranch_execz .LBB17_255
; %bb.254:
	v_add_co_u32 v5, vcc_lo, 0x3d800, v1
	v_add_co_ci_u32_e32 v6, vcc_lo, 0, v2, vcc_lo
	global_load_dwordx2 v[249:250], v[5:6], off
	s_waitcnt vmcnt(0)
	v_and_b32_e32 v250, 0x7fffffff, v250
.LBB17_255:
	s_or_b32 exec_lo, exec_lo, s25
	v_or_b32_e32 v5, 0x7c00, v0
                                        ; implicit-def: $vgpr251_vgpr252
	v_cmp_gt_u32_e64 s25, s29, v5
	s_and_saveexec_b32 s26, s25
	s_cbranch_execz .LBB17_257
; %bb.256:
	v_add_co_u32 v5, vcc_lo, 0x3e000, v1
	v_add_co_ci_u32_e32 v6, vcc_lo, 0, v2, vcc_lo
	global_load_dwordx2 v[251:252], v[5:6], off
	s_waitcnt vmcnt(0)
	v_and_b32_e32 v252, 0x7fffffff, v252
.LBB17_257:
	s_or_b32 exec_lo, exec_lo, s26
	v_or_b32_e32 v5, 0x7d00, v0
	v_cmp_gt_u32_e64 s26, s29, v5
                                        ; implicit-def: $vgpr5_vgpr6
	s_and_saveexec_b32 s27, s26
	s_cbranch_execz .LBB17_259
; %bb.258:
	v_add_co_u32 v5, vcc_lo, 0x3e800, v1
	v_add_co_ci_u32_e32 v6, vcc_lo, 0, v2, vcc_lo
	global_load_dwordx2 v[5:6], v[5:6], off
	s_waitcnt vmcnt(0)
	v_and_b32_e32 v6, 0x7fffffff, v6
.LBB17_259:
	s_or_b32 exec_lo, exec_lo, s27
	v_or_b32_e32 v7, 0x7e00, v0
	v_cmp_gt_u32_e64 s27, s29, v7
                                        ; implicit-def: $vgpr7_vgpr8
	s_and_saveexec_b32 s28, s27
	s_cbranch_execz .LBB17_261
; %bb.260:
	v_add_co_u32 v7, vcc_lo, 0x3f000, v1
	v_add_co_ci_u32_e32 v8, vcc_lo, 0, v2, vcc_lo
	global_load_dwordx2 v[7:8], v[7:8], off
	s_waitcnt vmcnt(0)
	v_and_b32_e32 v8, 0x7fffffff, v8
.LBB17_261:
	s_or_b32 exec_lo, exec_lo, s28
	v_or_b32_e32 v9, 0x7f00, v0
	v_cmp_gt_u32_e64 s28, s29, v9
                                        ; implicit-def: $vgpr9_vgpr10
	s_and_saveexec_b32 s30, s28
	s_cbranch_execz .LBB17_263
; %bb.262:
	v_add_co_u32 v1, vcc_lo, 0x3f800, v1
	v_add_co_ci_u32_e32 v2, vcc_lo, 0, v2, vcc_lo
	global_load_dwordx2 v[9:10], v[1:2], off
	s_waitcnt vmcnt(0)
	v_and_b32_e32 v10, 0x7fffffff, v10
.LBB17_263:
	s_or_b32 exec_lo, exec_lo, s30
	s_clause 0x1
	buffer_load_dword v1, off, s[100:103], 0
	buffer_load_dword v2, off, s[100:103], 0 offset:4
	v_readlane_b32 s30, v254, 6
	s_waitcnt vmcnt(0)
	v_add_f64 v[1:2], v[3:4], v[1:2]
	v_cndmask_b32_e64 v2, v4, v2, s30
	v_cndmask_b32_e64 v1, v3, v1, s30
	s_clause 0x1
	buffer_load_dword v3, off, s[100:103], 0 offset:8
	buffer_load_dword v4, off, s[100:103], 0 offset:12
	v_readlane_b32 s30, v254, 7
	s_waitcnt vmcnt(0)
	v_add_f64 v[3:4], v[1:2], v[3:4]
	v_cndmask_b32_e64 v2, v2, v4, s30
	v_cndmask_b32_e64 v1, v1, v3, s30
	s_clause 0x1
	buffer_load_dword v3, off, s[100:103], 0 offset:16
	buffer_load_dword v4, off, s[100:103], 0 offset:20
	v_readlane_b32 s30, v254, 8
	s_waitcnt vmcnt(0)
	v_add_f64 v[3:4], v[1:2], v[3:4]
	v_cndmask_b32_e64 v2, v2, v4, s30
	v_cndmask_b32_e64 v1, v1, v3, s30
	v_readlane_b32 s30, v254, 9
	v_add_f64 v[3:4], v[1:2], v[11:12]
	v_cndmask_b32_e64 v2, v2, v4, s30
	v_cndmask_b32_e64 v1, v1, v3, s30
	v_readlane_b32 s30, v254, 10
	;; [unrolled: 4-line block ×27, first 2 shown]
	v_add_f64 v[3:4], v[1:2], v[63:64]
	v_cndmask_b32_e64 v2, v2, v4, s30
	v_cndmask_b32_e64 v1, v1, v3, s30
	v_add_f64 v[3:4], v[1:2], v[65:66]
	v_cndmask_b32_e64 v2, v2, v4, s31
	v_cndmask_b32_e64 v1, v1, v3, s31
	;; [unrolled: 3-line block ×70, first 2 shown]
	v_add_f64 v[3:4], v[1:2], v[203:204]
	v_cndmask_b32_e64 v2, v2, v4, vcc_hi
	v_cndmask_b32_e64 v1, v1, v3, vcc_hi
	v_add_f64 v[3:4], v[1:2], v[205:206]
	v_cndmask_b32_e64 v2, v2, v4, s0
	v_cndmask_b32_e64 v1, v1, v3, s0
	s_min_u32 s0, s29, 0x100
	v_add_f64 v[3:4], v[1:2], v[207:208]
	v_cndmask_b32_e64 v2, v2, v4, s1
	v_cndmask_b32_e64 v1, v1, v3, s1
	s_mov_b32 s1, exec_lo
	v_add_f64 v[3:4], v[1:2], v[209:210]
	v_cndmask_b32_e64 v2, v2, v4, s2
	v_cndmask_b32_e64 v1, v1, v3, s2
	v_add_f64 v[3:4], v[1:2], v[211:212]
	v_cndmask_b32_e64 v2, v2, v4, s3
	v_cndmask_b32_e64 v1, v1, v3, s3
	;; [unrolled: 3-line block ×22, first 2 shown]
	v_add_f64 v[3:4], v[1:2], v[5:6]
	v_mbcnt_lo_u32_b32 v5, -1, 0
	v_cmp_ne_u32_e32 vcc_lo, 31, v5
	v_add_co_ci_u32_e32 v6, vcc_lo, 0, v5, vcc_lo
	v_lshlrev_b32_e32 v6, 2, v6
	v_cndmask_b32_e64 v2, v2, v4, s26
	v_cndmask_b32_e64 v1, v1, v3, s26
	v_add_f64 v[3:4], v[1:2], v[7:8]
	v_add_nc_u32_e32 v7, 1, v5
	v_cndmask_b32_e64 v2, v2, v4, s27
	v_cndmask_b32_e64 v1, v1, v3, s27
	v_add_f64 v[3:4], v[1:2], v[9:10]
	v_cndmask_b32_e64 v3, v1, v3, s28
	v_cndmask_b32_e64 v4, v2, v4, s28
	ds_bpermute_b32 v1, v6, v3
	ds_bpermute_b32 v2, v6, v4
	v_and_b32_e32 v6, 0xe0, v0
	v_sub_nc_u32_e64 v6, s0, v6 clamp
	v_cmpx_lt_u32_e64 v7, v6
	s_cbranch_execz .LBB17_265
; %bb.264:
	s_waitcnt lgkmcnt(0)
	v_add_f64 v[3:4], v[3:4], v[1:2]
.LBB17_265:
	s_or_b32 exec_lo, exec_lo, s1
	v_cmp_gt_u32_e32 vcc_lo, 30, v5
	v_add_nc_u32_e32 v7, 2, v5
	s_mov_b32 s1, exec_lo
	s_waitcnt lgkmcnt(1)
	v_cndmask_b32_e64 v1, 0, 1, vcc_lo
	v_lshlrev_b32_e32 v1, 1, v1
	s_waitcnt lgkmcnt(0)
	v_add_lshl_u32 v2, v1, v5, 2
	ds_bpermute_b32 v1, v2, v3
	ds_bpermute_b32 v2, v2, v4
	v_cmpx_lt_u32_e64 v7, v6
	s_cbranch_execz .LBB17_267
; %bb.266:
	s_waitcnt lgkmcnt(0)
	v_add_f64 v[3:4], v[3:4], v[1:2]
.LBB17_267:
	s_or_b32 exec_lo, exec_lo, s1
	v_cmp_gt_u32_e32 vcc_lo, 28, v5
	v_add_nc_u32_e32 v7, 4, v5
	s_mov_b32 s1, exec_lo
	s_waitcnt lgkmcnt(1)
	v_cndmask_b32_e64 v1, 0, 1, vcc_lo
	v_lshlrev_b32_e32 v1, 2, v1
	s_waitcnt lgkmcnt(0)
	v_add_lshl_u32 v2, v1, v5, 2
	ds_bpermute_b32 v1, v2, v3
	ds_bpermute_b32 v2, v2, v4
	v_cmpx_lt_u32_e64 v7, v6
	s_cbranch_execz .LBB17_269
; %bb.268:
	s_waitcnt lgkmcnt(0)
	v_add_f64 v[3:4], v[3:4], v[1:2]
.LBB17_269:
	s_or_b32 exec_lo, exec_lo, s1
	v_cmp_gt_u32_e32 vcc_lo, 24, v5
	v_add_nc_u32_e32 v7, 8, v5
	s_mov_b32 s1, exec_lo
	s_waitcnt lgkmcnt(1)
	v_cndmask_b32_e64 v1, 0, 1, vcc_lo
	v_lshlrev_b32_e32 v1, 3, v1
	s_waitcnt lgkmcnt(0)
	v_add_lshl_u32 v2, v1, v5, 2
	ds_bpermute_b32 v1, v2, v3
	ds_bpermute_b32 v2, v2, v4
	v_cmpx_lt_u32_e64 v7, v6
	s_cbranch_execz .LBB17_271
; %bb.270:
	s_waitcnt lgkmcnt(0)
	v_add_f64 v[3:4], v[3:4], v[1:2]
.LBB17_271:
	s_or_b32 exec_lo, exec_lo, s1
	v_cmp_gt_u32_e32 vcc_lo, 16, v5
	v_add_nc_u32_e32 v7, 16, v5
	s_mov_b32 s1, exec_lo
	s_waitcnt lgkmcnt(1)
	v_cndmask_b32_e64 v1, 0, 1, vcc_lo
	v_lshlrev_b32_e32 v1, 4, v1
	s_waitcnt lgkmcnt(0)
	v_add_lshl_u32 v2, v1, v5, 2
	ds_bpermute_b32 v1, v2, v3
	ds_bpermute_b32 v2, v2, v4
	v_cmpx_lt_u32_e64 v7, v6
	s_cbranch_execz .LBB17_273
; %bb.272:
	s_waitcnt lgkmcnt(0)
	v_add_f64 v[3:4], v[3:4], v[1:2]
.LBB17_273:
	s_or_b32 exec_lo, exec_lo, s1
	s_mov_b32 s1, exec_lo
	v_cmpx_eq_u32_e32 0, v5
	s_cbranch_execz .LBB17_275
; %bb.274:
	s_waitcnt lgkmcnt(1)
	v_lshrrev_b32_e32 v1, 2, v0
	v_and_b32_e32 v1, 56, v1
	ds_write_b64 v1, v[3:4] offset:64
.LBB17_275:
	s_or_b32 exec_lo, exec_lo, s1
	s_mov_b32 s1, exec_lo
	s_waitcnt lgkmcnt(0)
	s_waitcnt_vscnt null, 0x0
	s_barrier
	buffer_gl0_inv
	v_cmpx_gt_u32_e32 8, v0
	s_cbranch_execz .LBB17_283
; %bb.276:
	v_lshlrev_b32_e32 v1, 3, v5
	v_and_b32_e32 v6, 7, v5
	s_add_i32 s0, s0, 31
	s_mov_b32 s2, exec_lo
	s_lshr_b32 s0, s0, 5
	ds_read_b64 v[3:4], v1 offset:64
	v_cmp_ne_u32_e32 vcc_lo, 7, v6
	v_add_nc_u32_e32 v7, 1, v6
	v_add_co_ci_u32_e32 v1, vcc_lo, 0, v5, vcc_lo
	v_lshlrev_b32_e32 v2, 2, v1
	s_waitcnt lgkmcnt(0)
	ds_bpermute_b32 v1, v2, v3
	ds_bpermute_b32 v2, v2, v4
	v_cmpx_gt_u32_e64 s0, v7
	s_cbranch_execz .LBB17_278
; %bb.277:
	s_waitcnt lgkmcnt(0)
	v_add_f64 v[3:4], v[3:4], v[1:2]
.LBB17_278:
	s_or_b32 exec_lo, exec_lo, s2
	v_cmp_gt_u32_e32 vcc_lo, 6, v6
	v_add_nc_u32_e32 v7, 2, v6
	s_mov_b32 s2, exec_lo
	s_waitcnt lgkmcnt(1)
	v_cndmask_b32_e64 v1, 0, 1, vcc_lo
	v_lshlrev_b32_e32 v1, 1, v1
	s_waitcnt lgkmcnt(0)
	v_add_lshl_u32 v2, v1, v5, 2
	ds_bpermute_b32 v1, v2, v3
	ds_bpermute_b32 v2, v2, v4
	v_cmpx_gt_u32_e64 s0, v7
	s_cbranch_execz .LBB17_280
; %bb.279:
	s_waitcnt lgkmcnt(0)
	v_add_f64 v[3:4], v[3:4], v[1:2]
.LBB17_280:
	s_or_b32 exec_lo, exec_lo, s2
	v_cmp_gt_u32_e32 vcc_lo, 4, v6
	s_waitcnt lgkmcnt(1)
	v_cndmask_b32_e64 v1, 0, 1, vcc_lo
	v_lshlrev_b32_e32 v1, 2, v1
	s_waitcnt lgkmcnt(0)
	v_add_lshl_u32 v2, v1, v5, 2
	v_add_nc_u32_e32 v5, 4, v6
	ds_bpermute_b32 v1, v2, v3
	ds_bpermute_b32 v2, v2, v4
	v_cmp_gt_u32_e32 vcc_lo, s0, v5
	s_and_saveexec_b32 s0, vcc_lo
	s_cbranch_execz .LBB17_282
; %bb.281:
	s_waitcnt lgkmcnt(0)
	v_add_f64 v[3:4], v[3:4], v[1:2]
.LBB17_282:
	s_or_b32 exec_lo, exec_lo, s0
.LBB17_283:
	s_or_b32 exec_lo, exec_lo, s1
.LBB17_284:
	s_mov_b32 s0, exec_lo
	v_cmpx_eq_u32_e32 0, v0
	s_cbranch_execz .LBB17_286
; %bb.285:
	v_readlane_b32 s4, v254, 0
	v_readlane_b32 s5, v254, 1
	;; [unrolled: 1-line block ×6, first 2 shown]
	s_waitcnt lgkmcnt(1)
	v_add_f64 v[0:1], v[3:4], s[4:5]
	s_lshl_b64 s[0:1], s[6:7], 3
	s_waitcnt lgkmcnt(0)
	v_mov_b32_e32 v2, 0
	s_add_u32 s0, s10, s0
	s_addc_u32 s1, s11, s1
	s_cmp_eq_u64 s[8:9], 0
	s_cselect_b32 s2, -1, 0
	v_cndmask_b32_e64 v1, v1, s5, s2
	v_cndmask_b32_e64 v0, v0, s4, s2
	global_store_dwordx2 v2, v[0:1], s[0:1]
.LBB17_286:
	s_endpgm
	.section	.rodata,"a",@progbits
	.p2align	6, 0x0
	.amdhsa_kernel _ZN7rocprim6detail19block_reduce_kernelILb1ELb1ELj16ENS0_21wrapped_reduce_configINS_14default_configEdEEdN6thrust11hip_rocprim26transform_input_iterator_tIdNS5_6detail15normal_iteratorINS5_10device_ptrIdEEEEZ4mainEUldE_EEPddNS5_4plusIdEEEEvT4_mT5_T6_T7_
		.amdhsa_group_segment_fixed_size 128
		.amdhsa_private_segment_fixed_size 28
		.amdhsa_kernarg_size 44
		.amdhsa_user_sgpr_count 6
		.amdhsa_user_sgpr_private_segment_buffer 1
		.amdhsa_user_sgpr_dispatch_ptr 0
		.amdhsa_user_sgpr_queue_ptr 0
		.amdhsa_user_sgpr_kernarg_segment_ptr 1
		.amdhsa_user_sgpr_dispatch_id 0
		.amdhsa_user_sgpr_flat_scratch_init 0
		.amdhsa_user_sgpr_private_segment_size 0
		.amdhsa_wavefront_size32 1
		.amdhsa_uses_dynamic_stack 0
		.amdhsa_system_sgpr_private_segment_wavefront_offset 1
		.amdhsa_system_sgpr_workgroup_id_x 1
		.amdhsa_system_sgpr_workgroup_id_y 0
		.amdhsa_system_sgpr_workgroup_id_z 0
		.amdhsa_system_sgpr_workgroup_info 0
		.amdhsa_system_vgpr_workitem_id 0
		.amdhsa_next_free_vgpr 255
		.amdhsa_next_free_sgpr 105
		.amdhsa_reserve_vcc 1
		.amdhsa_reserve_flat_scratch 0
		.amdhsa_float_round_mode_32 0
		.amdhsa_float_round_mode_16_64 0
		.amdhsa_float_denorm_mode_32 3
		.amdhsa_float_denorm_mode_16_64 3
		.amdhsa_dx10_clamp 1
		.amdhsa_ieee_mode 1
		.amdhsa_fp16_overflow 0
		.amdhsa_workgroup_processor_mode 1
		.amdhsa_memory_ordered 1
		.amdhsa_forward_progress 0
		.amdhsa_shared_vgpr_count 0
		.amdhsa_exception_fp_ieee_invalid_op 0
		.amdhsa_exception_fp_denorm_src 0
		.amdhsa_exception_fp_ieee_div_zero 0
		.amdhsa_exception_fp_ieee_overflow 0
		.amdhsa_exception_fp_ieee_underflow 0
		.amdhsa_exception_fp_ieee_inexact 0
		.amdhsa_exception_int_div_zero 0
	.end_amdhsa_kernel
	.section	.text._ZN7rocprim6detail19block_reduce_kernelILb1ELb1ELj16ENS0_21wrapped_reduce_configINS_14default_configEdEEdN6thrust11hip_rocprim26transform_input_iterator_tIdNS5_6detail15normal_iteratorINS5_10device_ptrIdEEEEZ4mainEUldE_EEPddNS5_4plusIdEEEEvT4_mT5_T6_T7_,"axG",@progbits,_ZN7rocprim6detail19block_reduce_kernelILb1ELb1ELj16ENS0_21wrapped_reduce_configINS_14default_configEdEEdN6thrust11hip_rocprim26transform_input_iterator_tIdNS5_6detail15normal_iteratorINS5_10device_ptrIdEEEEZ4mainEUldE_EEPddNS5_4plusIdEEEEvT4_mT5_T6_T7_,comdat
.Lfunc_end17:
	.size	_ZN7rocprim6detail19block_reduce_kernelILb1ELb1ELj16ENS0_21wrapped_reduce_configINS_14default_configEdEEdN6thrust11hip_rocprim26transform_input_iterator_tIdNS5_6detail15normal_iteratorINS5_10device_ptrIdEEEEZ4mainEUldE_EEPddNS5_4plusIdEEEEvT4_mT5_T6_T7_, .Lfunc_end17-_ZN7rocprim6detail19block_reduce_kernelILb1ELb1ELj16ENS0_21wrapped_reduce_configINS_14default_configEdEEdN6thrust11hip_rocprim26transform_input_iterator_tIdNS5_6detail15normal_iteratorINS5_10device_ptrIdEEEEZ4mainEUldE_EEPddNS5_4plusIdEEEEvT4_mT5_T6_T7_
                                        ; -- End function
	.section	.AMDGPU.csdata,"",@progbits
; Kernel info:
; codeLenInByte = 16656
; NumSgprs: 107
; NumVgprs: 255
; ScratchSize: 28
; MemoryBound: 1
; FloatMode: 240
; IeeeMode: 1
; LDSByteSize: 128 bytes/workgroup (compile time only)
; SGPRBlocks: 13
; VGPRBlocks: 31
; NumSGPRsForWavesPerEU: 107
; NumVGPRsForWavesPerEU: 255
; Occupancy: 4
; WaveLimiterHint : 1
; COMPUTE_PGM_RSRC2:SCRATCH_EN: 1
; COMPUTE_PGM_RSRC2:USER_SGPR: 6
; COMPUTE_PGM_RSRC2:TRAP_HANDLER: 0
; COMPUTE_PGM_RSRC2:TGID_X_EN: 1
; COMPUTE_PGM_RSRC2:TGID_Y_EN: 0
; COMPUTE_PGM_RSRC2:TGID_Z_EN: 0
; COMPUTE_PGM_RSRC2:TIDIG_COMP_CNT: 0
	.section	.text._ZN7rocprim6detail19block_reduce_kernelILb1ELb0ELj16ENS0_21wrapped_reduce_configINS_14default_configEdEEdN6thrust11hip_rocprim26transform_input_iterator_tIdNS5_6detail15normal_iteratorINS5_10device_ptrIdEEEEZ4mainEUldE_EEPddNS5_4plusIdEEEEvT4_mT5_T6_T7_,"axG",@progbits,_ZN7rocprim6detail19block_reduce_kernelILb1ELb0ELj16ENS0_21wrapped_reduce_configINS_14default_configEdEEdN6thrust11hip_rocprim26transform_input_iterator_tIdNS5_6detail15normal_iteratorINS5_10device_ptrIdEEEEZ4mainEUldE_EEPddNS5_4plusIdEEEEvT4_mT5_T6_T7_,comdat
	.globl	_ZN7rocprim6detail19block_reduce_kernelILb1ELb0ELj16ENS0_21wrapped_reduce_configINS_14default_configEdEEdN6thrust11hip_rocprim26transform_input_iterator_tIdNS5_6detail15normal_iteratorINS5_10device_ptrIdEEEEZ4mainEUldE_EEPddNS5_4plusIdEEEEvT4_mT5_T6_T7_ ; -- Begin function _ZN7rocprim6detail19block_reduce_kernelILb1ELb0ELj16ENS0_21wrapped_reduce_configINS_14default_configEdEEdN6thrust11hip_rocprim26transform_input_iterator_tIdNS5_6detail15normal_iteratorINS5_10device_ptrIdEEEEZ4mainEUldE_EEPddNS5_4plusIdEEEEvT4_mT5_T6_T7_
	.p2align	8
	.type	_ZN7rocprim6detail19block_reduce_kernelILb1ELb0ELj16ENS0_21wrapped_reduce_configINS_14default_configEdEEdN6thrust11hip_rocprim26transform_input_iterator_tIdNS5_6detail15normal_iteratorINS5_10device_ptrIdEEEEZ4mainEUldE_EEPddNS5_4plusIdEEEEvT4_mT5_T6_T7_,@function
_ZN7rocprim6detail19block_reduce_kernelILb1ELb0ELj16ENS0_21wrapped_reduce_configINS_14default_configEdEEdN6thrust11hip_rocprim26transform_input_iterator_tIdNS5_6detail15normal_iteratorINS5_10device_ptrIdEEEEZ4mainEUldE_EEPddNS5_4plusIdEEEEvT4_mT5_T6_T7_: ; @_ZN7rocprim6detail19block_reduce_kernelILb1ELb0ELj16ENS0_21wrapped_reduce_configINS_14default_configEdEEdN6thrust11hip_rocprim26transform_input_iterator_tIdNS5_6detail15normal_iteratorINS5_10device_ptrIdEEEEZ4mainEUldE_EEPddNS5_4plusIdEEEEvT4_mT5_T6_T7_
; %bb.0:
	s_clause 0x2
	s_load_dwordx4 s[0:3], s[4:5], 0x10
	s_load_dwordx2 s[8:9], s[4:5], 0x0
	s_load_dwordx2 s[4:5], s[4:5], 0x20
	s_mov_b32 s11, 0
	v_mbcnt_lo_u32_b32 v5, -1, 0
	s_mov_b32 s7, s11
	s_lshl_b32 s10, s6, 8
	s_waitcnt lgkmcnt(0)
	s_lshr_b64 s[12:13], s[0:1], 8
	s_cmp_lg_u64 s[12:13], s[6:7]
	s_cbranch_scc0 .LBB18_6
; %bb.1:
	s_lshl_b64 s[12:13], s[10:11], 3
	v_lshlrev_b32_e32 v1, 3, v0
	s_add_u32 s12, s8, s12
	s_addc_u32 s13, s9, s13
	global_load_dwordx2 v[1:2], v1, s[12:13]
	s_mov_b32 s12, exec_lo
	s_waitcnt vmcnt(0)
	v_and_b32_e32 v4, 0x7fffffff, v2
	v_mov_b32_dpp v3, v1 quad_perm:[1,0,3,2] row_mask:0xf bank_mask:0xf
	v_mov_b32_dpp v4, v4 quad_perm:[1,0,3,2] row_mask:0xf bank_mask:0xf
	v_add_f64 v[1:2], |v[1:2]|, v[3:4]
	v_mov_b32_dpp v3, v1 quad_perm:[2,3,0,1] row_mask:0xf bank_mask:0xf
	v_mov_b32_dpp v4, v2 quad_perm:[2,3,0,1] row_mask:0xf bank_mask:0xf
	v_add_f64 v[1:2], v[1:2], v[3:4]
	v_mov_b32_dpp v3, v1 row_ror:4 row_mask:0xf bank_mask:0xf
	v_mov_b32_dpp v4, v2 row_ror:4 row_mask:0xf bank_mask:0xf
	v_add_f64 v[1:2], v[1:2], v[3:4]
	v_mov_b32_dpp v3, v1 row_ror:8 row_mask:0xf bank_mask:0xf
	v_mov_b32_dpp v4, v2 row_ror:8 row_mask:0xf bank_mask:0xf
	v_add_f64 v[1:2], v[1:2], v[3:4]
	ds_swizzle_b32 v3, v1 offset:swizzle(BROADCAST,32,15)
	ds_swizzle_b32 v4, v2 offset:swizzle(BROADCAST,32,15)
	s_waitcnt lgkmcnt(0)
	v_add_f64 v[1:2], v[1:2], v[3:4]
	v_mov_b32_e32 v3, 0
	ds_bpermute_b32 v1, v3, v1 offset:124
	ds_bpermute_b32 v2, v3, v2 offset:124
	v_cmpx_eq_u32_e32 0, v5
	s_cbranch_execz .LBB18_3
; %bb.2:
	v_lshrrev_b32_e32 v3, 2, v0
	v_and_b32_e32 v3, 56, v3
	s_waitcnt lgkmcnt(0)
	ds_write_b64 v3, v[1:2]
.LBB18_3:
	s_or_b32 exec_lo, exec_lo, s12
	s_mov_b32 s12, exec_lo
	s_waitcnt lgkmcnt(0)
	s_barrier
	buffer_gl0_inv
	v_cmpx_gt_u32_e32 32, v0
	s_cbranch_execz .LBB18_5
; %bb.4:
	v_and_b32_e32 v6, 7, v5
	v_lshlrev_b32_e32 v1, 3, v6
	v_cmp_ne_u32_e32 vcc_lo, 7, v6
	ds_read_b64 v[1:2], v1
	v_add_co_ci_u32_e32 v3, vcc_lo, 0, v5, vcc_lo
	v_cmp_gt_u32_e32 vcc_lo, 6, v6
	v_lshlrev_b32_e32 v4, 2, v3
	s_waitcnt lgkmcnt(0)
	ds_bpermute_b32 v3, v4, v1
	ds_bpermute_b32 v4, v4, v2
	s_waitcnt lgkmcnt(0)
	v_add_f64 v[1:2], v[1:2], v[3:4]
	v_cndmask_b32_e64 v3, 0, 1, vcc_lo
	v_cmp_gt_u32_e32 vcc_lo, 4, v6
	v_lshlrev_b32_e32 v3, 1, v3
	v_add_lshl_u32 v4, v3, v5, 2
	ds_bpermute_b32 v3, v4, v1
	ds_bpermute_b32 v4, v4, v2
	s_waitcnt lgkmcnt(0)
	v_add_f64 v[1:2], v[1:2], v[3:4]
	v_cndmask_b32_e64 v3, 0, 1, vcc_lo
	v_lshlrev_b32_e32 v3, 2, v3
	v_add_lshl_u32 v4, v3, v5, 2
	ds_bpermute_b32 v3, v4, v1
	ds_bpermute_b32 v4, v4, v2
	s_waitcnt lgkmcnt(0)
	v_add_f64 v[1:2], v[1:2], v[3:4]
.LBB18_5:
	s_or_b32 exec_lo, exec_lo, s12
	s_branch .LBB18_30
.LBB18_6:
                                        ; implicit-def: $vgpr1_vgpr2
	s_cbranch_execz .LBB18_30
; %bb.7:
	s_sub_i32 s12, s0, s10
	s_mov_b32 s13, exec_lo
                                        ; implicit-def: $vgpr1_vgpr2
	v_cmpx_gt_u32_e64 s12, v0
	s_cbranch_execz .LBB18_9
; %bb.8:
	s_lshl_b64 s[10:11], s[10:11], 3
	v_lshlrev_b32_e32 v1, 3, v0
	s_add_u32 s8, s8, s10
	s_addc_u32 s9, s9, s11
	global_load_dwordx2 v[1:2], v1, s[8:9]
	s_waitcnt vmcnt(0)
	v_and_b32_e32 v2, 0x7fffffff, v2
.LBB18_9:
	s_or_b32 exec_lo, exec_lo, s13
	v_cmp_ne_u32_e32 vcc_lo, 31, v5
	v_and_b32_e32 v6, 0xe0, v0
	s_min_u32 s8, s12, 0x100
	v_add_nc_u32_e32 v7, 1, v5
	s_mov_b32 s9, exec_lo
	v_add_co_ci_u32_e32 v3, vcc_lo, 0, v5, vcc_lo
	v_sub_nc_u32_e64 v6, s8, v6 clamp
	v_lshlrev_b32_e32 v4, 2, v3
	ds_bpermute_b32 v3, v4, v1
	ds_bpermute_b32 v4, v4, v2
	v_cmpx_lt_u32_e64 v7, v6
	s_cbranch_execz .LBB18_11
; %bb.10:
	s_waitcnt lgkmcnt(0)
	v_add_f64 v[1:2], v[1:2], v[3:4]
.LBB18_11:
	s_or_b32 exec_lo, exec_lo, s9
	v_cmp_gt_u32_e32 vcc_lo, 30, v5
	v_add_nc_u32_e32 v7, 2, v5
	s_mov_b32 s9, exec_lo
	s_waitcnt lgkmcnt(1)
	v_cndmask_b32_e64 v3, 0, 1, vcc_lo
	v_lshlrev_b32_e32 v3, 1, v3
	s_waitcnt lgkmcnt(0)
	v_add_lshl_u32 v4, v3, v5, 2
	ds_bpermute_b32 v3, v4, v1
	ds_bpermute_b32 v4, v4, v2
	v_cmpx_lt_u32_e64 v7, v6
	s_cbranch_execz .LBB18_13
; %bb.12:
	s_waitcnt lgkmcnt(0)
	v_add_f64 v[1:2], v[1:2], v[3:4]
.LBB18_13:
	s_or_b32 exec_lo, exec_lo, s9
	v_cmp_gt_u32_e32 vcc_lo, 28, v5
	v_add_nc_u32_e32 v7, 4, v5
	s_mov_b32 s9, exec_lo
	s_waitcnt lgkmcnt(1)
	v_cndmask_b32_e64 v3, 0, 1, vcc_lo
	v_lshlrev_b32_e32 v3, 2, v3
	s_waitcnt lgkmcnt(0)
	v_add_lshl_u32 v4, v3, v5, 2
	;; [unrolled: 17-line block ×4, first 2 shown]
	ds_bpermute_b32 v3, v4, v1
	ds_bpermute_b32 v4, v4, v2
	v_cmpx_lt_u32_e64 v7, v6
	s_cbranch_execz .LBB18_19
; %bb.18:
	s_waitcnt lgkmcnt(0)
	v_add_f64 v[1:2], v[1:2], v[3:4]
.LBB18_19:
	s_or_b32 exec_lo, exec_lo, s9
	s_mov_b32 s9, exec_lo
	v_cmpx_eq_u32_e32 0, v5
	s_cbranch_execz .LBB18_21
; %bb.20:
	s_waitcnt lgkmcnt(1)
	v_lshrrev_b32_e32 v3, 2, v0
	v_and_b32_e32 v3, 56, v3
	ds_write_b64 v3, v[1:2] offset:64
.LBB18_21:
	s_or_b32 exec_lo, exec_lo, s9
	s_mov_b32 s9, exec_lo
	s_waitcnt lgkmcnt(0)
	s_barrier
	buffer_gl0_inv
	v_cmpx_gt_u32_e32 8, v0
	s_cbranch_execz .LBB18_29
; %bb.22:
	v_lshlrev_b32_e32 v1, 3, v5
	v_and_b32_e32 v6, 7, v5
	s_add_i32 s8, s8, 31
	s_mov_b32 s10, exec_lo
	s_lshr_b32 s8, s8, 5
	ds_read_b64 v[1:2], v1 offset:64
	v_cmp_ne_u32_e32 vcc_lo, 7, v6
	v_add_nc_u32_e32 v7, 1, v6
	v_add_co_ci_u32_e32 v3, vcc_lo, 0, v5, vcc_lo
	v_lshlrev_b32_e32 v4, 2, v3
	s_waitcnt lgkmcnt(0)
	ds_bpermute_b32 v3, v4, v1
	ds_bpermute_b32 v4, v4, v2
	v_cmpx_gt_u32_e64 s8, v7
	s_cbranch_execz .LBB18_24
; %bb.23:
	s_waitcnt lgkmcnt(0)
	v_add_f64 v[1:2], v[1:2], v[3:4]
.LBB18_24:
	s_or_b32 exec_lo, exec_lo, s10
	v_cmp_gt_u32_e32 vcc_lo, 6, v6
	v_add_nc_u32_e32 v7, 2, v6
	s_mov_b32 s10, exec_lo
	s_waitcnt lgkmcnt(1)
	v_cndmask_b32_e64 v3, 0, 1, vcc_lo
	v_lshlrev_b32_e32 v3, 1, v3
	s_waitcnt lgkmcnt(0)
	v_add_lshl_u32 v4, v3, v5, 2
	ds_bpermute_b32 v3, v4, v1
	ds_bpermute_b32 v4, v4, v2
	v_cmpx_gt_u32_e64 s8, v7
	s_cbranch_execz .LBB18_26
; %bb.25:
	s_waitcnt lgkmcnt(0)
	v_add_f64 v[1:2], v[1:2], v[3:4]
.LBB18_26:
	s_or_b32 exec_lo, exec_lo, s10
	v_cmp_gt_u32_e32 vcc_lo, 4, v6
	s_waitcnt lgkmcnt(1)
	v_cndmask_b32_e64 v3, 0, 1, vcc_lo
	v_lshlrev_b32_e32 v3, 2, v3
	s_waitcnt lgkmcnt(0)
	v_add_lshl_u32 v4, v3, v5, 2
	v_add_nc_u32_e32 v5, 4, v6
	ds_bpermute_b32 v3, v4, v1
	ds_bpermute_b32 v4, v4, v2
	v_cmp_gt_u32_e32 vcc_lo, s8, v5
	s_and_saveexec_b32 s8, vcc_lo
	s_cbranch_execz .LBB18_28
; %bb.27:
	s_waitcnt lgkmcnt(0)
	v_add_f64 v[1:2], v[1:2], v[3:4]
.LBB18_28:
	s_or_b32 exec_lo, exec_lo, s8
.LBB18_29:
	s_or_b32 exec_lo, exec_lo, s9
.LBB18_30:
	s_mov_b32 s8, exec_lo
	v_cmpx_eq_u32_e32 0, v0
	s_cbranch_execz .LBB18_32
; %bb.31:
	v_add_f64 v[0:1], v[1:2], s[4:5]
	s_lshl_b64 s[6:7], s[6:7], 3
	v_mov_b32_e32 v2, 0
	s_add_u32 s2, s2, s6
	s_addc_u32 s3, s3, s7
	s_cmp_eq_u64 s[0:1], 0
	s_cselect_b32 s0, -1, 0
	v_cndmask_b32_e64 v1, v1, s5, s0
	v_cndmask_b32_e64 v0, v0, s4, s0
	global_store_dwordx2 v2, v[0:1], s[2:3]
.LBB18_32:
	s_endpgm
	.section	.rodata,"a",@progbits
	.p2align	6, 0x0
	.amdhsa_kernel _ZN7rocprim6detail19block_reduce_kernelILb1ELb0ELj16ENS0_21wrapped_reduce_configINS_14default_configEdEEdN6thrust11hip_rocprim26transform_input_iterator_tIdNS5_6detail15normal_iteratorINS5_10device_ptrIdEEEEZ4mainEUldE_EEPddNS5_4plusIdEEEEvT4_mT5_T6_T7_
		.amdhsa_group_segment_fixed_size 128
		.amdhsa_private_segment_fixed_size 0
		.amdhsa_kernarg_size 44
		.amdhsa_user_sgpr_count 6
		.amdhsa_user_sgpr_private_segment_buffer 1
		.amdhsa_user_sgpr_dispatch_ptr 0
		.amdhsa_user_sgpr_queue_ptr 0
		.amdhsa_user_sgpr_kernarg_segment_ptr 1
		.amdhsa_user_sgpr_dispatch_id 0
		.amdhsa_user_sgpr_flat_scratch_init 0
		.amdhsa_user_sgpr_private_segment_size 0
		.amdhsa_wavefront_size32 1
		.amdhsa_uses_dynamic_stack 0
		.amdhsa_system_sgpr_private_segment_wavefront_offset 0
		.amdhsa_system_sgpr_workgroup_id_x 1
		.amdhsa_system_sgpr_workgroup_id_y 0
		.amdhsa_system_sgpr_workgroup_id_z 0
		.amdhsa_system_sgpr_workgroup_info 0
		.amdhsa_system_vgpr_workitem_id 0
		.amdhsa_next_free_vgpr 8
		.amdhsa_next_free_sgpr 14
		.amdhsa_reserve_vcc 1
		.amdhsa_reserve_flat_scratch 0
		.amdhsa_float_round_mode_32 0
		.amdhsa_float_round_mode_16_64 0
		.amdhsa_float_denorm_mode_32 3
		.amdhsa_float_denorm_mode_16_64 3
		.amdhsa_dx10_clamp 1
		.amdhsa_ieee_mode 1
		.amdhsa_fp16_overflow 0
		.amdhsa_workgroup_processor_mode 1
		.amdhsa_memory_ordered 1
		.amdhsa_forward_progress 0
		.amdhsa_shared_vgpr_count 0
		.amdhsa_exception_fp_ieee_invalid_op 0
		.amdhsa_exception_fp_denorm_src 0
		.amdhsa_exception_fp_ieee_div_zero 0
		.amdhsa_exception_fp_ieee_overflow 0
		.amdhsa_exception_fp_ieee_underflow 0
		.amdhsa_exception_fp_ieee_inexact 0
		.amdhsa_exception_int_div_zero 0
	.end_amdhsa_kernel
	.section	.text._ZN7rocprim6detail19block_reduce_kernelILb1ELb0ELj16ENS0_21wrapped_reduce_configINS_14default_configEdEEdN6thrust11hip_rocprim26transform_input_iterator_tIdNS5_6detail15normal_iteratorINS5_10device_ptrIdEEEEZ4mainEUldE_EEPddNS5_4plusIdEEEEvT4_mT5_T6_T7_,"axG",@progbits,_ZN7rocprim6detail19block_reduce_kernelILb1ELb0ELj16ENS0_21wrapped_reduce_configINS_14default_configEdEEdN6thrust11hip_rocprim26transform_input_iterator_tIdNS5_6detail15normal_iteratorINS5_10device_ptrIdEEEEZ4mainEUldE_EEPddNS5_4plusIdEEEEvT4_mT5_T6_T7_,comdat
.Lfunc_end18:
	.size	_ZN7rocprim6detail19block_reduce_kernelILb1ELb0ELj16ENS0_21wrapped_reduce_configINS_14default_configEdEEdN6thrust11hip_rocprim26transform_input_iterator_tIdNS5_6detail15normal_iteratorINS5_10device_ptrIdEEEEZ4mainEUldE_EEPddNS5_4plusIdEEEEvT4_mT5_T6_T7_, .Lfunc_end18-_ZN7rocprim6detail19block_reduce_kernelILb1ELb0ELj16ENS0_21wrapped_reduce_configINS_14default_configEdEEdN6thrust11hip_rocprim26transform_input_iterator_tIdNS5_6detail15normal_iteratorINS5_10device_ptrIdEEEEZ4mainEUldE_EEPddNS5_4plusIdEEEEvT4_mT5_T6_T7_
                                        ; -- End function
	.section	.AMDGPU.csdata,"",@progbits
; Kernel info:
; codeLenInByte = 1364
; NumSgprs: 16
; NumVgprs: 8
; ScratchSize: 0
; MemoryBound: 0
; FloatMode: 240
; IeeeMode: 1
; LDSByteSize: 128 bytes/workgroup (compile time only)
; SGPRBlocks: 1
; VGPRBlocks: 0
; NumSGPRsForWavesPerEU: 16
; NumVGPRsForWavesPerEU: 8
; Occupancy: 16
; WaveLimiterHint : 0
; COMPUTE_PGM_RSRC2:SCRATCH_EN: 0
; COMPUTE_PGM_RSRC2:USER_SGPR: 6
; COMPUTE_PGM_RSRC2:TRAP_HANDLER: 0
; COMPUTE_PGM_RSRC2:TGID_X_EN: 1
; COMPUTE_PGM_RSRC2:TGID_Y_EN: 0
; COMPUTE_PGM_RSRC2:TGID_Z_EN: 0
; COMPUTE_PGM_RSRC2:TIDIG_COMP_CNT: 0
	.section	.text._ZN7rocprim6detail19block_reduce_kernelILb1ELb0ELj8ENS0_21wrapped_reduce_configINS_14default_configEdEEdN6thrust11hip_rocprim26transform_input_iterator_tIdNS5_6detail15normal_iteratorINS5_10device_ptrIdEEEEZ4mainEUldE_EEPddNS5_4plusIdEEEEvT4_mT5_T6_T7_,"axG",@progbits,_ZN7rocprim6detail19block_reduce_kernelILb1ELb0ELj8ENS0_21wrapped_reduce_configINS_14default_configEdEEdN6thrust11hip_rocprim26transform_input_iterator_tIdNS5_6detail15normal_iteratorINS5_10device_ptrIdEEEEZ4mainEUldE_EEPddNS5_4plusIdEEEEvT4_mT5_T6_T7_,comdat
	.globl	_ZN7rocprim6detail19block_reduce_kernelILb1ELb0ELj8ENS0_21wrapped_reduce_configINS_14default_configEdEEdN6thrust11hip_rocprim26transform_input_iterator_tIdNS5_6detail15normal_iteratorINS5_10device_ptrIdEEEEZ4mainEUldE_EEPddNS5_4plusIdEEEEvT4_mT5_T6_T7_ ; -- Begin function _ZN7rocprim6detail19block_reduce_kernelILb1ELb0ELj8ENS0_21wrapped_reduce_configINS_14default_configEdEEdN6thrust11hip_rocprim26transform_input_iterator_tIdNS5_6detail15normal_iteratorINS5_10device_ptrIdEEEEZ4mainEUldE_EEPddNS5_4plusIdEEEEvT4_mT5_T6_T7_
	.p2align	8
	.type	_ZN7rocprim6detail19block_reduce_kernelILb1ELb0ELj8ENS0_21wrapped_reduce_configINS_14default_configEdEEdN6thrust11hip_rocprim26transform_input_iterator_tIdNS5_6detail15normal_iteratorINS5_10device_ptrIdEEEEZ4mainEUldE_EEPddNS5_4plusIdEEEEvT4_mT5_T6_T7_,@function
_ZN7rocprim6detail19block_reduce_kernelILb1ELb0ELj8ENS0_21wrapped_reduce_configINS_14default_configEdEEdN6thrust11hip_rocprim26transform_input_iterator_tIdNS5_6detail15normal_iteratorINS5_10device_ptrIdEEEEZ4mainEUldE_EEPddNS5_4plusIdEEEEvT4_mT5_T6_T7_: ; @_ZN7rocprim6detail19block_reduce_kernelILb1ELb0ELj8ENS0_21wrapped_reduce_configINS_14default_configEdEEdN6thrust11hip_rocprim26transform_input_iterator_tIdNS5_6detail15normal_iteratorINS5_10device_ptrIdEEEEZ4mainEUldE_EEPddNS5_4plusIdEEEEvT4_mT5_T6_T7_
; %bb.0:
	s_clause 0x2
	s_load_dwordx4 s[0:3], s[4:5], 0x10
	s_load_dwordx2 s[8:9], s[4:5], 0x0
	s_load_dwordx2 s[4:5], s[4:5], 0x20
	s_mov_b32 s11, 0
	v_mbcnt_lo_u32_b32 v5, -1, 0
	s_mov_b32 s7, s11
	s_lshl_b32 s10, s6, 8
	s_waitcnt lgkmcnt(0)
	s_lshr_b64 s[12:13], s[0:1], 8
	s_cmp_lg_u64 s[12:13], s[6:7]
	s_cbranch_scc0 .LBB19_6
; %bb.1:
	s_lshl_b64 s[12:13], s[10:11], 3
	v_lshlrev_b32_e32 v1, 3, v0
	s_add_u32 s12, s8, s12
	s_addc_u32 s13, s9, s13
	global_load_dwordx2 v[1:2], v1, s[12:13]
	s_mov_b32 s12, exec_lo
	s_waitcnt vmcnt(0)
	v_and_b32_e32 v4, 0x7fffffff, v2
	v_mov_b32_dpp v3, v1 quad_perm:[1,0,3,2] row_mask:0xf bank_mask:0xf
	v_mov_b32_dpp v4, v4 quad_perm:[1,0,3,2] row_mask:0xf bank_mask:0xf
	v_add_f64 v[1:2], |v[1:2]|, v[3:4]
	v_mov_b32_dpp v3, v1 quad_perm:[2,3,0,1] row_mask:0xf bank_mask:0xf
	v_mov_b32_dpp v4, v2 quad_perm:[2,3,0,1] row_mask:0xf bank_mask:0xf
	v_add_f64 v[1:2], v[1:2], v[3:4]
	v_mov_b32_dpp v3, v1 row_ror:4 row_mask:0xf bank_mask:0xf
	v_mov_b32_dpp v4, v2 row_ror:4 row_mask:0xf bank_mask:0xf
	v_add_f64 v[1:2], v[1:2], v[3:4]
	v_mov_b32_dpp v3, v1 row_ror:8 row_mask:0xf bank_mask:0xf
	v_mov_b32_dpp v4, v2 row_ror:8 row_mask:0xf bank_mask:0xf
	v_add_f64 v[1:2], v[1:2], v[3:4]
	ds_swizzle_b32 v3, v1 offset:swizzle(BROADCAST,32,15)
	ds_swizzle_b32 v4, v2 offset:swizzle(BROADCAST,32,15)
	s_waitcnt lgkmcnt(0)
	v_add_f64 v[1:2], v[1:2], v[3:4]
	v_mov_b32_e32 v3, 0
	ds_bpermute_b32 v1, v3, v1 offset:124
	ds_bpermute_b32 v2, v3, v2 offset:124
	v_cmpx_eq_u32_e32 0, v5
	s_cbranch_execz .LBB19_3
; %bb.2:
	v_lshrrev_b32_e32 v3, 2, v0
	v_and_b32_e32 v3, 56, v3
	s_waitcnt lgkmcnt(0)
	ds_write_b64 v3, v[1:2]
.LBB19_3:
	s_or_b32 exec_lo, exec_lo, s12
	s_mov_b32 s12, exec_lo
	s_waitcnt lgkmcnt(0)
	s_barrier
	buffer_gl0_inv
	v_cmpx_gt_u32_e32 32, v0
	s_cbranch_execz .LBB19_5
; %bb.4:
	v_and_b32_e32 v6, 7, v5
	v_lshlrev_b32_e32 v1, 3, v6
	v_cmp_ne_u32_e32 vcc_lo, 7, v6
	ds_read_b64 v[1:2], v1
	v_add_co_ci_u32_e32 v3, vcc_lo, 0, v5, vcc_lo
	v_cmp_gt_u32_e32 vcc_lo, 6, v6
	v_lshlrev_b32_e32 v4, 2, v3
	s_waitcnt lgkmcnt(0)
	ds_bpermute_b32 v3, v4, v1
	ds_bpermute_b32 v4, v4, v2
	s_waitcnt lgkmcnt(0)
	v_add_f64 v[1:2], v[1:2], v[3:4]
	v_cndmask_b32_e64 v3, 0, 1, vcc_lo
	v_cmp_gt_u32_e32 vcc_lo, 4, v6
	v_lshlrev_b32_e32 v3, 1, v3
	v_add_lshl_u32 v4, v3, v5, 2
	ds_bpermute_b32 v3, v4, v1
	ds_bpermute_b32 v4, v4, v2
	s_waitcnt lgkmcnt(0)
	v_add_f64 v[1:2], v[1:2], v[3:4]
	v_cndmask_b32_e64 v3, 0, 1, vcc_lo
	v_lshlrev_b32_e32 v3, 2, v3
	v_add_lshl_u32 v4, v3, v5, 2
	ds_bpermute_b32 v3, v4, v1
	ds_bpermute_b32 v4, v4, v2
	s_waitcnt lgkmcnt(0)
	v_add_f64 v[1:2], v[1:2], v[3:4]
.LBB19_5:
	s_or_b32 exec_lo, exec_lo, s12
	s_branch .LBB19_30
.LBB19_6:
                                        ; implicit-def: $vgpr1_vgpr2
	s_cbranch_execz .LBB19_30
; %bb.7:
	s_sub_i32 s12, s0, s10
	s_mov_b32 s13, exec_lo
                                        ; implicit-def: $vgpr1_vgpr2
	v_cmpx_gt_u32_e64 s12, v0
	s_cbranch_execz .LBB19_9
; %bb.8:
	s_lshl_b64 s[10:11], s[10:11], 3
	v_lshlrev_b32_e32 v1, 3, v0
	s_add_u32 s8, s8, s10
	s_addc_u32 s9, s9, s11
	global_load_dwordx2 v[1:2], v1, s[8:9]
	s_waitcnt vmcnt(0)
	v_and_b32_e32 v2, 0x7fffffff, v2
.LBB19_9:
	s_or_b32 exec_lo, exec_lo, s13
	v_cmp_ne_u32_e32 vcc_lo, 31, v5
	v_and_b32_e32 v6, 0xe0, v0
	s_min_u32 s8, s12, 0x100
	v_add_nc_u32_e32 v7, 1, v5
	s_mov_b32 s9, exec_lo
	v_add_co_ci_u32_e32 v3, vcc_lo, 0, v5, vcc_lo
	v_sub_nc_u32_e64 v6, s8, v6 clamp
	v_lshlrev_b32_e32 v4, 2, v3
	ds_bpermute_b32 v3, v4, v1
	ds_bpermute_b32 v4, v4, v2
	v_cmpx_lt_u32_e64 v7, v6
	s_cbranch_execz .LBB19_11
; %bb.10:
	s_waitcnt lgkmcnt(0)
	v_add_f64 v[1:2], v[1:2], v[3:4]
.LBB19_11:
	s_or_b32 exec_lo, exec_lo, s9
	v_cmp_gt_u32_e32 vcc_lo, 30, v5
	v_add_nc_u32_e32 v7, 2, v5
	s_mov_b32 s9, exec_lo
	s_waitcnt lgkmcnt(1)
	v_cndmask_b32_e64 v3, 0, 1, vcc_lo
	v_lshlrev_b32_e32 v3, 1, v3
	s_waitcnt lgkmcnt(0)
	v_add_lshl_u32 v4, v3, v5, 2
	ds_bpermute_b32 v3, v4, v1
	ds_bpermute_b32 v4, v4, v2
	v_cmpx_lt_u32_e64 v7, v6
	s_cbranch_execz .LBB19_13
; %bb.12:
	s_waitcnt lgkmcnt(0)
	v_add_f64 v[1:2], v[1:2], v[3:4]
.LBB19_13:
	s_or_b32 exec_lo, exec_lo, s9
	v_cmp_gt_u32_e32 vcc_lo, 28, v5
	v_add_nc_u32_e32 v7, 4, v5
	s_mov_b32 s9, exec_lo
	s_waitcnt lgkmcnt(1)
	v_cndmask_b32_e64 v3, 0, 1, vcc_lo
	v_lshlrev_b32_e32 v3, 2, v3
	s_waitcnt lgkmcnt(0)
	v_add_lshl_u32 v4, v3, v5, 2
	;; [unrolled: 17-line block ×4, first 2 shown]
	ds_bpermute_b32 v3, v4, v1
	ds_bpermute_b32 v4, v4, v2
	v_cmpx_lt_u32_e64 v7, v6
	s_cbranch_execz .LBB19_19
; %bb.18:
	s_waitcnt lgkmcnt(0)
	v_add_f64 v[1:2], v[1:2], v[3:4]
.LBB19_19:
	s_or_b32 exec_lo, exec_lo, s9
	s_mov_b32 s9, exec_lo
	v_cmpx_eq_u32_e32 0, v5
	s_cbranch_execz .LBB19_21
; %bb.20:
	s_waitcnt lgkmcnt(1)
	v_lshrrev_b32_e32 v3, 2, v0
	v_and_b32_e32 v3, 56, v3
	ds_write_b64 v3, v[1:2] offset:64
.LBB19_21:
	s_or_b32 exec_lo, exec_lo, s9
	s_mov_b32 s9, exec_lo
	s_waitcnt lgkmcnt(0)
	s_barrier
	buffer_gl0_inv
	v_cmpx_gt_u32_e32 8, v0
	s_cbranch_execz .LBB19_29
; %bb.22:
	v_lshlrev_b32_e32 v1, 3, v5
	v_and_b32_e32 v6, 7, v5
	s_add_i32 s8, s8, 31
	s_mov_b32 s10, exec_lo
	s_lshr_b32 s8, s8, 5
	ds_read_b64 v[1:2], v1 offset:64
	v_cmp_ne_u32_e32 vcc_lo, 7, v6
	v_add_nc_u32_e32 v7, 1, v6
	v_add_co_ci_u32_e32 v3, vcc_lo, 0, v5, vcc_lo
	v_lshlrev_b32_e32 v4, 2, v3
	s_waitcnt lgkmcnt(0)
	ds_bpermute_b32 v3, v4, v1
	ds_bpermute_b32 v4, v4, v2
	v_cmpx_gt_u32_e64 s8, v7
	s_cbranch_execz .LBB19_24
; %bb.23:
	s_waitcnt lgkmcnt(0)
	v_add_f64 v[1:2], v[1:2], v[3:4]
.LBB19_24:
	s_or_b32 exec_lo, exec_lo, s10
	v_cmp_gt_u32_e32 vcc_lo, 6, v6
	v_add_nc_u32_e32 v7, 2, v6
	s_mov_b32 s10, exec_lo
	s_waitcnt lgkmcnt(1)
	v_cndmask_b32_e64 v3, 0, 1, vcc_lo
	v_lshlrev_b32_e32 v3, 1, v3
	s_waitcnt lgkmcnt(0)
	v_add_lshl_u32 v4, v3, v5, 2
	ds_bpermute_b32 v3, v4, v1
	ds_bpermute_b32 v4, v4, v2
	v_cmpx_gt_u32_e64 s8, v7
	s_cbranch_execz .LBB19_26
; %bb.25:
	s_waitcnt lgkmcnt(0)
	v_add_f64 v[1:2], v[1:2], v[3:4]
.LBB19_26:
	s_or_b32 exec_lo, exec_lo, s10
	v_cmp_gt_u32_e32 vcc_lo, 4, v6
	s_waitcnt lgkmcnt(1)
	v_cndmask_b32_e64 v3, 0, 1, vcc_lo
	v_lshlrev_b32_e32 v3, 2, v3
	s_waitcnt lgkmcnt(0)
	v_add_lshl_u32 v4, v3, v5, 2
	v_add_nc_u32_e32 v5, 4, v6
	ds_bpermute_b32 v3, v4, v1
	ds_bpermute_b32 v4, v4, v2
	v_cmp_gt_u32_e32 vcc_lo, s8, v5
	s_and_saveexec_b32 s8, vcc_lo
	s_cbranch_execz .LBB19_28
; %bb.27:
	s_waitcnt lgkmcnt(0)
	v_add_f64 v[1:2], v[1:2], v[3:4]
.LBB19_28:
	s_or_b32 exec_lo, exec_lo, s8
.LBB19_29:
	s_or_b32 exec_lo, exec_lo, s9
.LBB19_30:
	s_mov_b32 s8, exec_lo
	v_cmpx_eq_u32_e32 0, v0
	s_cbranch_execz .LBB19_32
; %bb.31:
	v_add_f64 v[0:1], v[1:2], s[4:5]
	s_lshl_b64 s[6:7], s[6:7], 3
	v_mov_b32_e32 v2, 0
	s_add_u32 s2, s2, s6
	s_addc_u32 s3, s3, s7
	s_cmp_eq_u64 s[0:1], 0
	s_cselect_b32 s0, -1, 0
	v_cndmask_b32_e64 v1, v1, s5, s0
	v_cndmask_b32_e64 v0, v0, s4, s0
	global_store_dwordx2 v2, v[0:1], s[2:3]
.LBB19_32:
	s_endpgm
	.section	.rodata,"a",@progbits
	.p2align	6, 0x0
	.amdhsa_kernel _ZN7rocprim6detail19block_reduce_kernelILb1ELb0ELj8ENS0_21wrapped_reduce_configINS_14default_configEdEEdN6thrust11hip_rocprim26transform_input_iterator_tIdNS5_6detail15normal_iteratorINS5_10device_ptrIdEEEEZ4mainEUldE_EEPddNS5_4plusIdEEEEvT4_mT5_T6_T7_
		.amdhsa_group_segment_fixed_size 128
		.amdhsa_private_segment_fixed_size 0
		.amdhsa_kernarg_size 44
		.amdhsa_user_sgpr_count 6
		.amdhsa_user_sgpr_private_segment_buffer 1
		.amdhsa_user_sgpr_dispatch_ptr 0
		.amdhsa_user_sgpr_queue_ptr 0
		.amdhsa_user_sgpr_kernarg_segment_ptr 1
		.amdhsa_user_sgpr_dispatch_id 0
		.amdhsa_user_sgpr_flat_scratch_init 0
		.amdhsa_user_sgpr_private_segment_size 0
		.amdhsa_wavefront_size32 1
		.amdhsa_uses_dynamic_stack 0
		.amdhsa_system_sgpr_private_segment_wavefront_offset 0
		.amdhsa_system_sgpr_workgroup_id_x 1
		.amdhsa_system_sgpr_workgroup_id_y 0
		.amdhsa_system_sgpr_workgroup_id_z 0
		.amdhsa_system_sgpr_workgroup_info 0
		.amdhsa_system_vgpr_workitem_id 0
		.amdhsa_next_free_vgpr 8
		.amdhsa_next_free_sgpr 14
		.amdhsa_reserve_vcc 1
		.amdhsa_reserve_flat_scratch 0
		.amdhsa_float_round_mode_32 0
		.amdhsa_float_round_mode_16_64 0
		.amdhsa_float_denorm_mode_32 3
		.amdhsa_float_denorm_mode_16_64 3
		.amdhsa_dx10_clamp 1
		.amdhsa_ieee_mode 1
		.amdhsa_fp16_overflow 0
		.amdhsa_workgroup_processor_mode 1
		.amdhsa_memory_ordered 1
		.amdhsa_forward_progress 0
		.amdhsa_shared_vgpr_count 0
		.amdhsa_exception_fp_ieee_invalid_op 0
		.amdhsa_exception_fp_denorm_src 0
		.amdhsa_exception_fp_ieee_div_zero 0
		.amdhsa_exception_fp_ieee_overflow 0
		.amdhsa_exception_fp_ieee_underflow 0
		.amdhsa_exception_fp_ieee_inexact 0
		.amdhsa_exception_int_div_zero 0
	.end_amdhsa_kernel
	.section	.text._ZN7rocprim6detail19block_reduce_kernelILb1ELb0ELj8ENS0_21wrapped_reduce_configINS_14default_configEdEEdN6thrust11hip_rocprim26transform_input_iterator_tIdNS5_6detail15normal_iteratorINS5_10device_ptrIdEEEEZ4mainEUldE_EEPddNS5_4plusIdEEEEvT4_mT5_T6_T7_,"axG",@progbits,_ZN7rocprim6detail19block_reduce_kernelILb1ELb0ELj8ENS0_21wrapped_reduce_configINS_14default_configEdEEdN6thrust11hip_rocprim26transform_input_iterator_tIdNS5_6detail15normal_iteratorINS5_10device_ptrIdEEEEZ4mainEUldE_EEPddNS5_4plusIdEEEEvT4_mT5_T6_T7_,comdat
.Lfunc_end19:
	.size	_ZN7rocprim6detail19block_reduce_kernelILb1ELb0ELj8ENS0_21wrapped_reduce_configINS_14default_configEdEEdN6thrust11hip_rocprim26transform_input_iterator_tIdNS5_6detail15normal_iteratorINS5_10device_ptrIdEEEEZ4mainEUldE_EEPddNS5_4plusIdEEEEvT4_mT5_T6_T7_, .Lfunc_end19-_ZN7rocprim6detail19block_reduce_kernelILb1ELb0ELj8ENS0_21wrapped_reduce_configINS_14default_configEdEEdN6thrust11hip_rocprim26transform_input_iterator_tIdNS5_6detail15normal_iteratorINS5_10device_ptrIdEEEEZ4mainEUldE_EEPddNS5_4plusIdEEEEvT4_mT5_T6_T7_
                                        ; -- End function
	.section	.AMDGPU.csdata,"",@progbits
; Kernel info:
; codeLenInByte = 1364
; NumSgprs: 16
; NumVgprs: 8
; ScratchSize: 0
; MemoryBound: 0
; FloatMode: 240
; IeeeMode: 1
; LDSByteSize: 128 bytes/workgroup (compile time only)
; SGPRBlocks: 1
; VGPRBlocks: 0
; NumSGPRsForWavesPerEU: 16
; NumVGPRsForWavesPerEU: 8
; Occupancy: 16
; WaveLimiterHint : 0
; COMPUTE_PGM_RSRC2:SCRATCH_EN: 0
; COMPUTE_PGM_RSRC2:USER_SGPR: 6
; COMPUTE_PGM_RSRC2:TRAP_HANDLER: 0
; COMPUTE_PGM_RSRC2:TGID_X_EN: 1
; COMPUTE_PGM_RSRC2:TGID_Y_EN: 0
; COMPUTE_PGM_RSRC2:TGID_Z_EN: 0
; COMPUTE_PGM_RSRC2:TIDIG_COMP_CNT: 0
	.section	.text._ZN7rocprim6detail19block_reduce_kernelILb1ELb0ELj4ENS0_21wrapped_reduce_configINS_14default_configEdEEdN6thrust11hip_rocprim26transform_input_iterator_tIdNS5_6detail15normal_iteratorINS5_10device_ptrIdEEEEZ4mainEUldE_EEPddNS5_4plusIdEEEEvT4_mT5_T6_T7_,"axG",@progbits,_ZN7rocprim6detail19block_reduce_kernelILb1ELb0ELj4ENS0_21wrapped_reduce_configINS_14default_configEdEEdN6thrust11hip_rocprim26transform_input_iterator_tIdNS5_6detail15normal_iteratorINS5_10device_ptrIdEEEEZ4mainEUldE_EEPddNS5_4plusIdEEEEvT4_mT5_T6_T7_,comdat
	.globl	_ZN7rocprim6detail19block_reduce_kernelILb1ELb0ELj4ENS0_21wrapped_reduce_configINS_14default_configEdEEdN6thrust11hip_rocprim26transform_input_iterator_tIdNS5_6detail15normal_iteratorINS5_10device_ptrIdEEEEZ4mainEUldE_EEPddNS5_4plusIdEEEEvT4_mT5_T6_T7_ ; -- Begin function _ZN7rocprim6detail19block_reduce_kernelILb1ELb0ELj4ENS0_21wrapped_reduce_configINS_14default_configEdEEdN6thrust11hip_rocprim26transform_input_iterator_tIdNS5_6detail15normal_iteratorINS5_10device_ptrIdEEEEZ4mainEUldE_EEPddNS5_4plusIdEEEEvT4_mT5_T6_T7_
	.p2align	8
	.type	_ZN7rocprim6detail19block_reduce_kernelILb1ELb0ELj4ENS0_21wrapped_reduce_configINS_14default_configEdEEdN6thrust11hip_rocprim26transform_input_iterator_tIdNS5_6detail15normal_iteratorINS5_10device_ptrIdEEEEZ4mainEUldE_EEPddNS5_4plusIdEEEEvT4_mT5_T6_T7_,@function
_ZN7rocprim6detail19block_reduce_kernelILb1ELb0ELj4ENS0_21wrapped_reduce_configINS_14default_configEdEEdN6thrust11hip_rocprim26transform_input_iterator_tIdNS5_6detail15normal_iteratorINS5_10device_ptrIdEEEEZ4mainEUldE_EEPddNS5_4plusIdEEEEvT4_mT5_T6_T7_: ; @_ZN7rocprim6detail19block_reduce_kernelILb1ELb0ELj4ENS0_21wrapped_reduce_configINS_14default_configEdEEdN6thrust11hip_rocprim26transform_input_iterator_tIdNS5_6detail15normal_iteratorINS5_10device_ptrIdEEEEZ4mainEUldE_EEPddNS5_4plusIdEEEEvT4_mT5_T6_T7_
; %bb.0:
	s_clause 0x2
	s_load_dwordx4 s[8:11], s[4:5], 0x10
	s_load_dwordx2 s[12:13], s[4:5], 0x0
	s_load_dwordx2 s[2:3], s[4:5], 0x20
	s_mov_b32 s1, 0
	s_lshl_b32 s0, s6, 9
	v_lshlrev_b32_e32 v1, 3, v0
	s_lshl_b64 s[4:5], s[0:1], 3
	s_mov_b32 s7, s1
	v_mbcnt_lo_u32_b32 v7, -1, 0
	s_waitcnt lgkmcnt(0)
	s_lshr_b64 s[14:15], s[8:9], 9
	s_add_u32 s1, s12, s4
	s_addc_u32 s4, s13, s5
	v_add_co_u32 v5, s1, s1, v1
	v_add_co_ci_u32_e64 v6, null, s4, 0, s1
	s_cmp_lg_u64 s[14:15], s[6:7]
	s_cbranch_scc0 .LBB20_6
; %bb.1:
	v_add_co_u32 v1, vcc_lo, 0x800, v5
	v_add_co_ci_u32_e32 v2, vcc_lo, 0, v6, vcc_lo
	s_mov_b32 s1, exec_lo
	s_clause 0x1
	global_load_dwordx2 v[3:4], v[5:6], off
	global_load_dwordx2 v[1:2], v[1:2], off
	s_waitcnt vmcnt(0)
	v_add_f64 v[1:2], |v[3:4]|, |v[1:2]|
	v_mov_b32_dpp v3, v1 quad_perm:[1,0,3,2] row_mask:0xf bank_mask:0xf
	v_mov_b32_dpp v4, v2 quad_perm:[1,0,3,2] row_mask:0xf bank_mask:0xf
	v_add_f64 v[1:2], v[1:2], v[3:4]
	v_mov_b32_dpp v3, v1 quad_perm:[2,3,0,1] row_mask:0xf bank_mask:0xf
	v_mov_b32_dpp v4, v2 quad_perm:[2,3,0,1] row_mask:0xf bank_mask:0xf
	v_add_f64 v[1:2], v[1:2], v[3:4]
	v_mov_b32_dpp v3, v1 row_ror:4 row_mask:0xf bank_mask:0xf
	v_mov_b32_dpp v4, v2 row_ror:4 row_mask:0xf bank_mask:0xf
	v_add_f64 v[1:2], v[1:2], v[3:4]
	v_mov_b32_dpp v3, v1 row_ror:8 row_mask:0xf bank_mask:0xf
	v_mov_b32_dpp v4, v2 row_ror:8 row_mask:0xf bank_mask:0xf
	v_add_f64 v[1:2], v[1:2], v[3:4]
	ds_swizzle_b32 v3, v1 offset:swizzle(BROADCAST,32,15)
	ds_swizzle_b32 v4, v2 offset:swizzle(BROADCAST,32,15)
	s_waitcnt lgkmcnt(0)
	v_add_f64 v[1:2], v[1:2], v[3:4]
	v_mov_b32_e32 v3, 0
	ds_bpermute_b32 v1, v3, v1 offset:124
	ds_bpermute_b32 v2, v3, v2 offset:124
	v_cmpx_eq_u32_e32 0, v7
	s_cbranch_execz .LBB20_3
; %bb.2:
	v_lshrrev_b32_e32 v3, 2, v0
	v_and_b32_e32 v3, 56, v3
	s_waitcnt lgkmcnt(0)
	ds_write_b64 v3, v[1:2]
.LBB20_3:
	s_or_b32 exec_lo, exec_lo, s1
	s_mov_b32 s1, exec_lo
	s_waitcnt lgkmcnt(0)
	s_barrier
	buffer_gl0_inv
	v_cmpx_gt_u32_e32 32, v0
	s_cbranch_execz .LBB20_5
; %bb.4:
	v_and_b32_e32 v8, 7, v7
	v_lshlrev_b32_e32 v1, 3, v8
	v_cmp_ne_u32_e32 vcc_lo, 7, v8
	ds_read_b64 v[1:2], v1
	v_add_co_ci_u32_e32 v3, vcc_lo, 0, v7, vcc_lo
	v_cmp_gt_u32_e32 vcc_lo, 6, v8
	v_lshlrev_b32_e32 v4, 2, v3
	s_waitcnt lgkmcnt(0)
	ds_bpermute_b32 v3, v4, v1
	ds_bpermute_b32 v4, v4, v2
	s_waitcnt lgkmcnt(0)
	v_add_f64 v[1:2], v[1:2], v[3:4]
	v_cndmask_b32_e64 v3, 0, 1, vcc_lo
	v_cmp_gt_u32_e32 vcc_lo, 4, v8
	v_lshlrev_b32_e32 v3, 1, v3
	v_add_lshl_u32 v4, v3, v7, 2
	ds_bpermute_b32 v3, v4, v1
	ds_bpermute_b32 v4, v4, v2
	s_waitcnt lgkmcnt(0)
	v_add_f64 v[1:2], v[1:2], v[3:4]
	v_cndmask_b32_e64 v3, 0, 1, vcc_lo
	v_lshlrev_b32_e32 v3, 2, v3
	v_add_lshl_u32 v4, v3, v7, 2
	ds_bpermute_b32 v3, v4, v1
	ds_bpermute_b32 v4, v4, v2
	s_waitcnt lgkmcnt(0)
	v_add_f64 v[1:2], v[1:2], v[3:4]
.LBB20_5:
	s_or_b32 exec_lo, exec_lo, s1
	s_branch .LBB20_32
.LBB20_6:
                                        ; implicit-def: $vgpr1_vgpr2
	s_cbranch_execz .LBB20_32
; %bb.7:
	s_sub_i32 s1, s8, s0
	s_mov_b32 s0, exec_lo
                                        ; implicit-def: $vgpr1_vgpr2_vgpr3_vgpr4
	v_cmpx_gt_u32_e64 s1, v0
	s_cbranch_execz .LBB20_9
; %bb.8:
	global_load_dwordx2 v[1:2], v[5:6], off
	s_waitcnt vmcnt(0)
	v_and_b32_e32 v2, 0x7fffffff, v2
.LBB20_9:
	s_or_b32 exec_lo, exec_lo, s0
	v_or_b32_e32 v8, 0x100, v0
	v_cmp_gt_u32_e32 vcc_lo, s1, v8
	s_and_saveexec_b32 s4, vcc_lo
	s_cbranch_execz .LBB20_11
; %bb.10:
	v_add_co_u32 v3, s0, 0x800, v5
	v_add_co_ci_u32_e64 v4, s0, 0, v6, s0
	global_load_dwordx2 v[3:4], v[3:4], off
	s_waitcnt vmcnt(0)
	v_and_b32_e32 v4, 0x7fffffff, v4
.LBB20_11:
	s_or_b32 exec_lo, exec_lo, s4
	v_add_f64 v[3:4], v[1:2], v[3:4]
	v_cmp_ne_u32_e64 s0, 31, v7
	v_add_nc_u32_e32 v6, 1, v7
	v_add_co_ci_u32_e64 v5, s0, 0, v7, s0
	s_min_u32 s0, s1, 0x100
	s_mov_b32 s1, exec_lo
	v_lshlrev_b32_e32 v5, 2, v5
	v_cndmask_b32_e32 v1, v1, v3, vcc_lo
	v_cndmask_b32_e32 v2, v2, v4, vcc_lo
	ds_bpermute_b32 v3, v5, v1
	ds_bpermute_b32 v4, v5, v2
	v_and_b32_e32 v5, 0xe0, v0
	v_sub_nc_u32_e64 v5, s0, v5 clamp
	v_cmpx_lt_u32_e64 v6, v5
	s_cbranch_execz .LBB20_13
; %bb.12:
	s_waitcnt lgkmcnt(0)
	v_add_f64 v[1:2], v[1:2], v[3:4]
.LBB20_13:
	s_or_b32 exec_lo, exec_lo, s1
	v_cmp_gt_u32_e32 vcc_lo, 30, v7
	v_add_nc_u32_e32 v6, 2, v7
	s_mov_b32 s1, exec_lo
	s_waitcnt lgkmcnt(1)
	v_cndmask_b32_e64 v3, 0, 1, vcc_lo
	v_lshlrev_b32_e32 v3, 1, v3
	s_waitcnt lgkmcnt(0)
	v_add_lshl_u32 v4, v3, v7, 2
	ds_bpermute_b32 v3, v4, v1
	ds_bpermute_b32 v4, v4, v2
	v_cmpx_lt_u32_e64 v6, v5
	s_cbranch_execz .LBB20_15
; %bb.14:
	s_waitcnt lgkmcnt(0)
	v_add_f64 v[1:2], v[1:2], v[3:4]
.LBB20_15:
	s_or_b32 exec_lo, exec_lo, s1
	v_cmp_gt_u32_e32 vcc_lo, 28, v7
	v_add_nc_u32_e32 v6, 4, v7
	s_mov_b32 s1, exec_lo
	s_waitcnt lgkmcnt(1)
	v_cndmask_b32_e64 v3, 0, 1, vcc_lo
	v_lshlrev_b32_e32 v3, 2, v3
	s_waitcnt lgkmcnt(0)
	v_add_lshl_u32 v4, v3, v7, 2
	ds_bpermute_b32 v3, v4, v1
	ds_bpermute_b32 v4, v4, v2
	;; [unrolled: 17-line block ×4, first 2 shown]
	v_cmpx_lt_u32_e64 v6, v5
	s_cbranch_execz .LBB20_21
; %bb.20:
	s_waitcnt lgkmcnt(0)
	v_add_f64 v[1:2], v[1:2], v[3:4]
.LBB20_21:
	s_or_b32 exec_lo, exec_lo, s1
	s_mov_b32 s1, exec_lo
	v_cmpx_eq_u32_e32 0, v7
	s_cbranch_execz .LBB20_23
; %bb.22:
	s_waitcnt lgkmcnt(1)
	v_lshrrev_b32_e32 v3, 2, v0
	v_and_b32_e32 v3, 56, v3
	ds_write_b64 v3, v[1:2] offset:64
.LBB20_23:
	s_or_b32 exec_lo, exec_lo, s1
	s_mov_b32 s1, exec_lo
	s_waitcnt lgkmcnt(0)
	s_barrier
	buffer_gl0_inv
	v_cmpx_gt_u32_e32 8, v0
	s_cbranch_execz .LBB20_31
; %bb.24:
	v_lshlrev_b32_e32 v1, 3, v7
	v_and_b32_e32 v5, 7, v7
	s_add_i32 s0, s0, 31
	s_mov_b32 s4, exec_lo
	s_lshr_b32 s0, s0, 5
	ds_read_b64 v[1:2], v1 offset:64
	v_cmp_ne_u32_e32 vcc_lo, 7, v5
	v_add_nc_u32_e32 v6, 1, v5
	v_add_co_ci_u32_e32 v3, vcc_lo, 0, v7, vcc_lo
	v_lshlrev_b32_e32 v4, 2, v3
	s_waitcnt lgkmcnt(0)
	ds_bpermute_b32 v3, v4, v1
	ds_bpermute_b32 v4, v4, v2
	v_cmpx_gt_u32_e64 s0, v6
	s_cbranch_execz .LBB20_26
; %bb.25:
	s_waitcnt lgkmcnt(0)
	v_add_f64 v[1:2], v[1:2], v[3:4]
.LBB20_26:
	s_or_b32 exec_lo, exec_lo, s4
	v_cmp_gt_u32_e32 vcc_lo, 6, v5
	v_add_nc_u32_e32 v6, 2, v5
	s_mov_b32 s4, exec_lo
	s_waitcnt lgkmcnt(1)
	v_cndmask_b32_e64 v3, 0, 1, vcc_lo
	v_lshlrev_b32_e32 v3, 1, v3
	s_waitcnt lgkmcnt(0)
	v_add_lshl_u32 v4, v3, v7, 2
	ds_bpermute_b32 v3, v4, v1
	ds_bpermute_b32 v4, v4, v2
	v_cmpx_gt_u32_e64 s0, v6
	s_cbranch_execz .LBB20_28
; %bb.27:
	s_waitcnt lgkmcnt(0)
	v_add_f64 v[1:2], v[1:2], v[3:4]
.LBB20_28:
	s_or_b32 exec_lo, exec_lo, s4
	v_cmp_gt_u32_e32 vcc_lo, 4, v5
	v_add_nc_u32_e32 v5, 4, v5
	s_waitcnt lgkmcnt(1)
	v_cndmask_b32_e64 v3, 0, 1, vcc_lo
	v_cmp_gt_u32_e32 vcc_lo, s0, v5
	v_lshlrev_b32_e32 v3, 2, v3
	s_waitcnt lgkmcnt(0)
	v_add_lshl_u32 v4, v3, v7, 2
	ds_bpermute_b32 v3, v4, v1
	ds_bpermute_b32 v4, v4, v2
	s_and_saveexec_b32 s0, vcc_lo
	s_cbranch_execz .LBB20_30
; %bb.29:
	s_waitcnt lgkmcnt(0)
	v_add_f64 v[1:2], v[1:2], v[3:4]
.LBB20_30:
	s_or_b32 exec_lo, exec_lo, s0
.LBB20_31:
	s_or_b32 exec_lo, exec_lo, s1
.LBB20_32:
	s_mov_b32 s0, exec_lo
	v_cmpx_eq_u32_e32 0, v0
	s_cbranch_execz .LBB20_34
; %bb.33:
	v_add_f64 v[0:1], v[1:2], s[2:3]
	s_lshl_b64 s[0:1], s[6:7], 3
	v_mov_b32_e32 v2, 0
	s_add_u32 s0, s10, s0
	s_addc_u32 s1, s11, s1
	s_cmp_eq_u64 s[8:9], 0
	s_cselect_b32 s4, -1, 0
	v_cndmask_b32_e64 v1, v1, s3, s4
	v_cndmask_b32_e64 v0, v0, s2, s4
	global_store_dwordx2 v2, v[0:1], s[0:1]
.LBB20_34:
	s_endpgm
	.section	.rodata,"a",@progbits
	.p2align	6, 0x0
	.amdhsa_kernel _ZN7rocprim6detail19block_reduce_kernelILb1ELb0ELj4ENS0_21wrapped_reduce_configINS_14default_configEdEEdN6thrust11hip_rocprim26transform_input_iterator_tIdNS5_6detail15normal_iteratorINS5_10device_ptrIdEEEEZ4mainEUldE_EEPddNS5_4plusIdEEEEvT4_mT5_T6_T7_
		.amdhsa_group_segment_fixed_size 128
		.amdhsa_private_segment_fixed_size 0
		.amdhsa_kernarg_size 44
		.amdhsa_user_sgpr_count 6
		.amdhsa_user_sgpr_private_segment_buffer 1
		.amdhsa_user_sgpr_dispatch_ptr 0
		.amdhsa_user_sgpr_queue_ptr 0
		.amdhsa_user_sgpr_kernarg_segment_ptr 1
		.amdhsa_user_sgpr_dispatch_id 0
		.amdhsa_user_sgpr_flat_scratch_init 0
		.amdhsa_user_sgpr_private_segment_size 0
		.amdhsa_wavefront_size32 1
		.amdhsa_uses_dynamic_stack 0
		.amdhsa_system_sgpr_private_segment_wavefront_offset 0
		.amdhsa_system_sgpr_workgroup_id_x 1
		.amdhsa_system_sgpr_workgroup_id_y 0
		.amdhsa_system_sgpr_workgroup_id_z 0
		.amdhsa_system_sgpr_workgroup_info 0
		.amdhsa_system_vgpr_workitem_id 0
		.amdhsa_next_free_vgpr 9
		.amdhsa_next_free_sgpr 16
		.amdhsa_reserve_vcc 1
		.amdhsa_reserve_flat_scratch 0
		.amdhsa_float_round_mode_32 0
		.amdhsa_float_round_mode_16_64 0
		.amdhsa_float_denorm_mode_32 3
		.amdhsa_float_denorm_mode_16_64 3
		.amdhsa_dx10_clamp 1
		.amdhsa_ieee_mode 1
		.amdhsa_fp16_overflow 0
		.amdhsa_workgroup_processor_mode 1
		.amdhsa_memory_ordered 1
		.amdhsa_forward_progress 0
		.amdhsa_shared_vgpr_count 0
		.amdhsa_exception_fp_ieee_invalid_op 0
		.amdhsa_exception_fp_denorm_src 0
		.amdhsa_exception_fp_ieee_div_zero 0
		.amdhsa_exception_fp_ieee_overflow 0
		.amdhsa_exception_fp_ieee_underflow 0
		.amdhsa_exception_fp_ieee_inexact 0
		.amdhsa_exception_int_div_zero 0
	.end_amdhsa_kernel
	.section	.text._ZN7rocprim6detail19block_reduce_kernelILb1ELb0ELj4ENS0_21wrapped_reduce_configINS_14default_configEdEEdN6thrust11hip_rocprim26transform_input_iterator_tIdNS5_6detail15normal_iteratorINS5_10device_ptrIdEEEEZ4mainEUldE_EEPddNS5_4plusIdEEEEvT4_mT5_T6_T7_,"axG",@progbits,_ZN7rocprim6detail19block_reduce_kernelILb1ELb0ELj4ENS0_21wrapped_reduce_configINS_14default_configEdEEdN6thrust11hip_rocprim26transform_input_iterator_tIdNS5_6detail15normal_iteratorINS5_10device_ptrIdEEEEZ4mainEUldE_EEPddNS5_4plusIdEEEEvT4_mT5_T6_T7_,comdat
.Lfunc_end20:
	.size	_ZN7rocprim6detail19block_reduce_kernelILb1ELb0ELj4ENS0_21wrapped_reduce_configINS_14default_configEdEEdN6thrust11hip_rocprim26transform_input_iterator_tIdNS5_6detail15normal_iteratorINS5_10device_ptrIdEEEEZ4mainEUldE_EEPddNS5_4plusIdEEEEvT4_mT5_T6_T7_, .Lfunc_end20-_ZN7rocprim6detail19block_reduce_kernelILb1ELb0ELj4ENS0_21wrapped_reduce_configINS_14default_configEdEEdN6thrust11hip_rocprim26transform_input_iterator_tIdNS5_6detail15normal_iteratorINS5_10device_ptrIdEEEEZ4mainEUldE_EEPddNS5_4plusIdEEEEvT4_mT5_T6_T7_
                                        ; -- End function
	.section	.AMDGPU.csdata,"",@progbits
; Kernel info:
; codeLenInByte = 1480
; NumSgprs: 18
; NumVgprs: 9
; ScratchSize: 0
; MemoryBound: 0
; FloatMode: 240
; IeeeMode: 1
; LDSByteSize: 128 bytes/workgroup (compile time only)
; SGPRBlocks: 2
; VGPRBlocks: 1
; NumSGPRsForWavesPerEU: 18
; NumVGPRsForWavesPerEU: 9
; Occupancy: 16
; WaveLimiterHint : 1
; COMPUTE_PGM_RSRC2:SCRATCH_EN: 0
; COMPUTE_PGM_RSRC2:USER_SGPR: 6
; COMPUTE_PGM_RSRC2:TRAP_HANDLER: 0
; COMPUTE_PGM_RSRC2:TGID_X_EN: 1
; COMPUTE_PGM_RSRC2:TGID_Y_EN: 0
; COMPUTE_PGM_RSRC2:TGID_Z_EN: 0
; COMPUTE_PGM_RSRC2:TIDIG_COMP_CNT: 0
	.section	.text._ZN7rocprim6detail19block_reduce_kernelILb1ELb0ELj2ENS0_21wrapped_reduce_configINS_14default_configEdEEdN6thrust11hip_rocprim26transform_input_iterator_tIdNS5_6detail15normal_iteratorINS5_10device_ptrIdEEEEZ4mainEUldE_EEPddNS5_4plusIdEEEEvT4_mT5_T6_T7_,"axG",@progbits,_ZN7rocprim6detail19block_reduce_kernelILb1ELb0ELj2ENS0_21wrapped_reduce_configINS_14default_configEdEEdN6thrust11hip_rocprim26transform_input_iterator_tIdNS5_6detail15normal_iteratorINS5_10device_ptrIdEEEEZ4mainEUldE_EEPddNS5_4plusIdEEEEvT4_mT5_T6_T7_,comdat
	.globl	_ZN7rocprim6detail19block_reduce_kernelILb1ELb0ELj2ENS0_21wrapped_reduce_configINS_14default_configEdEEdN6thrust11hip_rocprim26transform_input_iterator_tIdNS5_6detail15normal_iteratorINS5_10device_ptrIdEEEEZ4mainEUldE_EEPddNS5_4plusIdEEEEvT4_mT5_T6_T7_ ; -- Begin function _ZN7rocprim6detail19block_reduce_kernelILb1ELb0ELj2ENS0_21wrapped_reduce_configINS_14default_configEdEEdN6thrust11hip_rocprim26transform_input_iterator_tIdNS5_6detail15normal_iteratorINS5_10device_ptrIdEEEEZ4mainEUldE_EEPddNS5_4plusIdEEEEvT4_mT5_T6_T7_
	.p2align	8
	.type	_ZN7rocprim6detail19block_reduce_kernelILb1ELb0ELj2ENS0_21wrapped_reduce_configINS_14default_configEdEEdN6thrust11hip_rocprim26transform_input_iterator_tIdNS5_6detail15normal_iteratorINS5_10device_ptrIdEEEEZ4mainEUldE_EEPddNS5_4plusIdEEEEvT4_mT5_T6_T7_,@function
_ZN7rocprim6detail19block_reduce_kernelILb1ELb0ELj2ENS0_21wrapped_reduce_configINS_14default_configEdEEdN6thrust11hip_rocprim26transform_input_iterator_tIdNS5_6detail15normal_iteratorINS5_10device_ptrIdEEEEZ4mainEUldE_EEPddNS5_4plusIdEEEEvT4_mT5_T6_T7_: ; @_ZN7rocprim6detail19block_reduce_kernelILb1ELb0ELj2ENS0_21wrapped_reduce_configINS_14default_configEdEEdN6thrust11hip_rocprim26transform_input_iterator_tIdNS5_6detail15normal_iteratorINS5_10device_ptrIdEEEEZ4mainEUldE_EEPddNS5_4plusIdEEEEvT4_mT5_T6_T7_
; %bb.0:
	s_clause 0x2
	s_load_dwordx4 s[8:11], s[4:5], 0x10
	s_load_dwordx2 s[2:3], s[4:5], 0x0
	s_load_dwordx2 s[4:5], s[4:5], 0x20
	s_mov_b32 s1, 0
	s_lshl_b32 s0, s6, 10
	v_lshlrev_b32_e32 v1, 3, v0
	s_lshl_b64 s[12:13], s[0:1], 3
	s_mov_b32 s7, s1
	v_mbcnt_lo_u32_b32 v11, -1, 0
	s_waitcnt lgkmcnt(0)
	s_lshr_b64 s[14:15], s[8:9], 10
	s_add_u32 s1, s2, s12
	s_addc_u32 s2, s3, s13
	v_add_co_u32 v9, s1, s1, v1
	v_add_co_ci_u32_e64 v10, null, s2, 0, s1
	s_cmp_lg_u64 s[14:15], s[6:7]
	s_cbranch_scc0 .LBB21_6
; %bb.1:
	v_add_co_u32 v1, vcc_lo, v9, 0x1000
	v_add_co_ci_u32_e32 v2, vcc_lo, 0, v10, vcc_lo
	v_add_co_u32 v7, vcc_lo, 0x1800, v9
	s_clause 0x2
	global_load_dwordx2 v[3:4], v[9:10], off
	global_load_dwordx2 v[5:6], v[1:2], off offset:-2048
	global_load_dwordx2 v[1:2], v[1:2], off
	v_add_co_ci_u32_e32 v8, vcc_lo, 0, v10, vcc_lo
	s_mov_b32 s1, exec_lo
	global_load_dwordx2 v[7:8], v[7:8], off
	s_waitcnt vmcnt(2)
	v_add_f64 v[3:4], |v[3:4]|, |v[5:6]|
	s_waitcnt vmcnt(1)
	v_add_f64 v[1:2], v[3:4], |v[1:2]|
	s_waitcnt vmcnt(0)
	v_add_f64 v[1:2], v[1:2], |v[7:8]|
	v_mov_b32_dpp v3, v1 quad_perm:[1,0,3,2] row_mask:0xf bank_mask:0xf
	v_mov_b32_dpp v4, v2 quad_perm:[1,0,3,2] row_mask:0xf bank_mask:0xf
	v_add_f64 v[1:2], v[1:2], v[3:4]
	v_mov_b32_dpp v3, v1 quad_perm:[2,3,0,1] row_mask:0xf bank_mask:0xf
	v_mov_b32_dpp v4, v2 quad_perm:[2,3,0,1] row_mask:0xf bank_mask:0xf
	v_add_f64 v[1:2], v[1:2], v[3:4]
	v_mov_b32_dpp v3, v1 row_ror:4 row_mask:0xf bank_mask:0xf
	v_mov_b32_dpp v4, v2 row_ror:4 row_mask:0xf bank_mask:0xf
	v_add_f64 v[1:2], v[1:2], v[3:4]
	v_mov_b32_dpp v3, v1 row_ror:8 row_mask:0xf bank_mask:0xf
	v_mov_b32_dpp v4, v2 row_ror:8 row_mask:0xf bank_mask:0xf
	v_add_f64 v[1:2], v[1:2], v[3:4]
	ds_swizzle_b32 v3, v1 offset:swizzle(BROADCAST,32,15)
	ds_swizzle_b32 v4, v2 offset:swizzle(BROADCAST,32,15)
	s_waitcnt lgkmcnt(0)
	v_add_f64 v[1:2], v[1:2], v[3:4]
	v_mov_b32_e32 v3, 0
	ds_bpermute_b32 v1, v3, v1 offset:124
	ds_bpermute_b32 v2, v3, v2 offset:124
	v_cmpx_eq_u32_e32 0, v11
	s_cbranch_execz .LBB21_3
; %bb.2:
	v_lshrrev_b32_e32 v3, 2, v0
	v_and_b32_e32 v3, 56, v3
	s_waitcnt lgkmcnt(0)
	ds_write_b64 v3, v[1:2]
.LBB21_3:
	s_or_b32 exec_lo, exec_lo, s1
	s_mov_b32 s1, exec_lo
	s_waitcnt lgkmcnt(0)
	s_barrier
	buffer_gl0_inv
	v_cmpx_gt_u32_e32 32, v0
	s_cbranch_execz .LBB21_5
; %bb.4:
	v_and_b32_e32 v5, 7, v11
	v_lshlrev_b32_e32 v1, 3, v5
	v_cmp_ne_u32_e32 vcc_lo, 7, v5
	ds_read_b64 v[1:2], v1
	v_add_co_ci_u32_e32 v3, vcc_lo, 0, v11, vcc_lo
	v_cmp_gt_u32_e32 vcc_lo, 6, v5
	v_lshlrev_b32_e32 v4, 2, v3
	s_waitcnt lgkmcnt(0)
	ds_bpermute_b32 v3, v4, v1
	ds_bpermute_b32 v4, v4, v2
	s_waitcnt lgkmcnt(0)
	v_add_f64 v[1:2], v[1:2], v[3:4]
	v_cndmask_b32_e64 v3, 0, 1, vcc_lo
	v_cmp_gt_u32_e32 vcc_lo, 4, v5
	v_lshlrev_b32_e32 v3, 1, v3
	v_add_lshl_u32 v4, v3, v11, 2
	ds_bpermute_b32 v3, v4, v1
	ds_bpermute_b32 v4, v4, v2
	s_waitcnt lgkmcnt(0)
	v_add_f64 v[1:2], v[1:2], v[3:4]
	v_cndmask_b32_e64 v3, 0, 1, vcc_lo
	v_lshlrev_b32_e32 v3, 2, v3
	v_add_lshl_u32 v4, v3, v11, 2
	ds_bpermute_b32 v3, v4, v1
	ds_bpermute_b32 v4, v4, v2
	s_waitcnt lgkmcnt(0)
	v_add_f64 v[1:2], v[1:2], v[3:4]
.LBB21_5:
	s_or_b32 exec_lo, exec_lo, s1
	s_branch .LBB21_36
.LBB21_6:
                                        ; implicit-def: $vgpr1_vgpr2
	s_cbranch_execz .LBB21_36
; %bb.7:
	s_sub_i32 s3, s8, s0
	s_mov_b32 s0, exec_lo
                                        ; implicit-def: $vgpr1_vgpr2_vgpr3_vgpr4_vgpr5_vgpr6_vgpr7_vgpr8
	v_cmpx_gt_u32_e64 s3, v0
	s_cbranch_execz .LBB21_9
; %bb.8:
	global_load_dwordx2 v[1:2], v[9:10], off
	s_waitcnt vmcnt(0)
	v_and_b32_e32 v2, 0x7fffffff, v2
.LBB21_9:
	s_or_b32 exec_lo, exec_lo, s0
	v_or_b32_e32 v12, 0x100, v0
	v_cmp_gt_u32_e32 vcc_lo, s3, v12
	s_and_saveexec_b32 s1, vcc_lo
	s_cbranch_execz .LBB21_11
; %bb.10:
	v_add_co_u32 v3, s0, 0x800, v9
	v_add_co_ci_u32_e64 v4, s0, 0, v10, s0
	global_load_dwordx2 v[3:4], v[3:4], off
	s_waitcnt vmcnt(0)
	v_and_b32_e32 v4, 0x7fffffff, v4
.LBB21_11:
	s_or_b32 exec_lo, exec_lo, s1
	v_or_b32_e32 v12, 0x200, v0
	v_cmp_gt_u32_e64 s0, s3, v12
	s_and_saveexec_b32 s2, s0
	s_cbranch_execz .LBB21_13
; %bb.12:
	v_add_co_u32 v5, s1, 0x1000, v9
	v_add_co_ci_u32_e64 v6, s1, 0, v10, s1
	global_load_dwordx2 v[5:6], v[5:6], off
	s_waitcnt vmcnt(0)
	v_and_b32_e32 v6, 0x7fffffff, v6
.LBB21_13:
	s_or_b32 exec_lo, exec_lo, s2
	v_or_b32_e32 v12, 0x300, v0
	v_cmp_gt_u32_e64 s1, s3, v12
	s_and_saveexec_b32 s12, s1
	s_cbranch_execz .LBB21_15
; %bb.14:
	v_add_co_u32 v7, s2, 0x1800, v9
	v_add_co_ci_u32_e64 v8, s2, 0, v10, s2
	global_load_dwordx2 v[7:8], v[7:8], off
	s_waitcnt vmcnt(0)
	v_and_b32_e32 v8, 0x7fffffff, v8
.LBB21_15:
	s_or_b32 exec_lo, exec_lo, s12
	v_add_f64 v[3:4], v[1:2], v[3:4]
	v_cndmask_b32_e32 v2, v2, v4, vcc_lo
	v_cndmask_b32_e32 v1, v1, v3, vcc_lo
	v_cmp_ne_u32_e32 vcc_lo, 31, v11
	v_add_f64 v[3:4], v[5:6], v[1:2]
	v_add_co_ci_u32_e32 v5, vcc_lo, 0, v11, vcc_lo
	v_add_nc_u32_e32 v6, 1, v11
	v_lshlrev_b32_e32 v5, 2, v5
	v_cndmask_b32_e64 v2, v2, v4, s0
	v_cndmask_b32_e64 v1, v1, v3, s0
	s_min_u32 s0, s3, 0x100
	v_add_f64 v[3:4], v[7:8], v[1:2]
	v_cndmask_b32_e64 v1, v1, v3, s1
	v_cndmask_b32_e64 v2, v2, v4, s1
	s_mov_b32 s1, exec_lo
	ds_bpermute_b32 v3, v5, v1
	ds_bpermute_b32 v4, v5, v2
	v_and_b32_e32 v5, 0xe0, v0
	v_sub_nc_u32_e64 v5, s0, v5 clamp
	v_cmpx_lt_u32_e64 v6, v5
	s_cbranch_execz .LBB21_17
; %bb.16:
	s_waitcnt lgkmcnt(0)
	v_add_f64 v[1:2], v[1:2], v[3:4]
.LBB21_17:
	s_or_b32 exec_lo, exec_lo, s1
	v_cmp_gt_u32_e32 vcc_lo, 30, v11
	v_add_nc_u32_e32 v6, 2, v11
	s_mov_b32 s1, exec_lo
	s_waitcnt lgkmcnt(1)
	v_cndmask_b32_e64 v3, 0, 1, vcc_lo
	v_lshlrev_b32_e32 v3, 1, v3
	s_waitcnt lgkmcnt(0)
	v_add_lshl_u32 v4, v3, v11, 2
	ds_bpermute_b32 v3, v4, v1
	ds_bpermute_b32 v4, v4, v2
	v_cmpx_lt_u32_e64 v6, v5
	s_cbranch_execz .LBB21_19
; %bb.18:
	s_waitcnt lgkmcnt(0)
	v_add_f64 v[1:2], v[1:2], v[3:4]
.LBB21_19:
	s_or_b32 exec_lo, exec_lo, s1
	v_cmp_gt_u32_e32 vcc_lo, 28, v11
	v_add_nc_u32_e32 v6, 4, v11
	s_mov_b32 s1, exec_lo
	s_waitcnt lgkmcnt(1)
	v_cndmask_b32_e64 v3, 0, 1, vcc_lo
	v_lshlrev_b32_e32 v3, 2, v3
	s_waitcnt lgkmcnt(0)
	v_add_lshl_u32 v4, v3, v11, 2
	ds_bpermute_b32 v3, v4, v1
	ds_bpermute_b32 v4, v4, v2
	;; [unrolled: 17-line block ×4, first 2 shown]
	v_cmpx_lt_u32_e64 v6, v5
	s_cbranch_execz .LBB21_25
; %bb.24:
	s_waitcnt lgkmcnt(0)
	v_add_f64 v[1:2], v[1:2], v[3:4]
.LBB21_25:
	s_or_b32 exec_lo, exec_lo, s1
	s_mov_b32 s1, exec_lo
	v_cmpx_eq_u32_e32 0, v11
	s_cbranch_execz .LBB21_27
; %bb.26:
	s_waitcnt lgkmcnt(1)
	v_lshrrev_b32_e32 v3, 2, v0
	v_and_b32_e32 v3, 56, v3
	ds_write_b64 v3, v[1:2] offset:64
.LBB21_27:
	s_or_b32 exec_lo, exec_lo, s1
	s_mov_b32 s1, exec_lo
	s_waitcnt lgkmcnt(0)
	s_barrier
	buffer_gl0_inv
	v_cmpx_gt_u32_e32 8, v0
	s_cbranch_execz .LBB21_35
; %bb.28:
	v_lshlrev_b32_e32 v1, 3, v11
	v_and_b32_e32 v5, 7, v11
	s_add_i32 s0, s0, 31
	s_mov_b32 s2, exec_lo
	s_lshr_b32 s0, s0, 5
	ds_read_b64 v[1:2], v1 offset:64
	v_cmp_ne_u32_e32 vcc_lo, 7, v5
	v_add_nc_u32_e32 v6, 1, v5
	v_add_co_ci_u32_e32 v3, vcc_lo, 0, v11, vcc_lo
	v_lshlrev_b32_e32 v4, 2, v3
	s_waitcnt lgkmcnt(0)
	ds_bpermute_b32 v3, v4, v1
	ds_bpermute_b32 v4, v4, v2
	v_cmpx_gt_u32_e64 s0, v6
	s_cbranch_execz .LBB21_30
; %bb.29:
	s_waitcnt lgkmcnt(0)
	v_add_f64 v[1:2], v[1:2], v[3:4]
.LBB21_30:
	s_or_b32 exec_lo, exec_lo, s2
	v_cmp_gt_u32_e32 vcc_lo, 6, v5
	v_add_nc_u32_e32 v6, 2, v5
	s_mov_b32 s2, exec_lo
	s_waitcnt lgkmcnt(1)
	v_cndmask_b32_e64 v3, 0, 1, vcc_lo
	v_lshlrev_b32_e32 v3, 1, v3
	s_waitcnt lgkmcnt(0)
	v_add_lshl_u32 v4, v3, v11, 2
	ds_bpermute_b32 v3, v4, v1
	ds_bpermute_b32 v4, v4, v2
	v_cmpx_gt_u32_e64 s0, v6
	s_cbranch_execz .LBB21_32
; %bb.31:
	s_waitcnt lgkmcnt(0)
	v_add_f64 v[1:2], v[1:2], v[3:4]
.LBB21_32:
	s_or_b32 exec_lo, exec_lo, s2
	v_cmp_gt_u32_e32 vcc_lo, 4, v5
	v_add_nc_u32_e32 v5, 4, v5
	s_waitcnt lgkmcnt(1)
	v_cndmask_b32_e64 v3, 0, 1, vcc_lo
	v_cmp_gt_u32_e32 vcc_lo, s0, v5
	v_lshlrev_b32_e32 v3, 2, v3
	s_waitcnt lgkmcnt(0)
	v_add_lshl_u32 v4, v3, v11, 2
	ds_bpermute_b32 v3, v4, v1
	ds_bpermute_b32 v4, v4, v2
	s_and_saveexec_b32 s0, vcc_lo
	s_cbranch_execz .LBB21_34
; %bb.33:
	s_waitcnt lgkmcnt(0)
	v_add_f64 v[1:2], v[1:2], v[3:4]
.LBB21_34:
	s_or_b32 exec_lo, exec_lo, s0
.LBB21_35:
	s_or_b32 exec_lo, exec_lo, s1
.LBB21_36:
	s_mov_b32 s0, exec_lo
	v_cmpx_eq_u32_e32 0, v0
	s_cbranch_execz .LBB21_38
; %bb.37:
	v_add_f64 v[0:1], v[1:2], s[4:5]
	s_lshl_b64 s[0:1], s[6:7], 3
	v_mov_b32_e32 v2, 0
	s_add_u32 s0, s10, s0
	s_addc_u32 s1, s11, s1
	s_cmp_eq_u64 s[8:9], 0
	s_cselect_b32 s2, -1, 0
	v_cndmask_b32_e64 v1, v1, s5, s2
	v_cndmask_b32_e64 v0, v0, s4, s2
	global_store_dwordx2 v2, v[0:1], s[0:1]
.LBB21_38:
	s_endpgm
	.section	.rodata,"a",@progbits
	.p2align	6, 0x0
	.amdhsa_kernel _ZN7rocprim6detail19block_reduce_kernelILb1ELb0ELj2ENS0_21wrapped_reduce_configINS_14default_configEdEEdN6thrust11hip_rocprim26transform_input_iterator_tIdNS5_6detail15normal_iteratorINS5_10device_ptrIdEEEEZ4mainEUldE_EEPddNS5_4plusIdEEEEvT4_mT5_T6_T7_
		.amdhsa_group_segment_fixed_size 128
		.amdhsa_private_segment_fixed_size 0
		.amdhsa_kernarg_size 44
		.amdhsa_user_sgpr_count 6
		.amdhsa_user_sgpr_private_segment_buffer 1
		.amdhsa_user_sgpr_dispatch_ptr 0
		.amdhsa_user_sgpr_queue_ptr 0
		.amdhsa_user_sgpr_kernarg_segment_ptr 1
		.amdhsa_user_sgpr_dispatch_id 0
		.amdhsa_user_sgpr_flat_scratch_init 0
		.amdhsa_user_sgpr_private_segment_size 0
		.amdhsa_wavefront_size32 1
		.amdhsa_uses_dynamic_stack 0
		.amdhsa_system_sgpr_private_segment_wavefront_offset 0
		.amdhsa_system_sgpr_workgroup_id_x 1
		.amdhsa_system_sgpr_workgroup_id_y 0
		.amdhsa_system_sgpr_workgroup_id_z 0
		.amdhsa_system_sgpr_workgroup_info 0
		.amdhsa_system_vgpr_workitem_id 0
		.amdhsa_next_free_vgpr 13
		.amdhsa_next_free_sgpr 16
		.amdhsa_reserve_vcc 1
		.amdhsa_reserve_flat_scratch 0
		.amdhsa_float_round_mode_32 0
		.amdhsa_float_round_mode_16_64 0
		.amdhsa_float_denorm_mode_32 3
		.amdhsa_float_denorm_mode_16_64 3
		.amdhsa_dx10_clamp 1
		.amdhsa_ieee_mode 1
		.amdhsa_fp16_overflow 0
		.amdhsa_workgroup_processor_mode 1
		.amdhsa_memory_ordered 1
		.amdhsa_forward_progress 0
		.amdhsa_shared_vgpr_count 0
		.amdhsa_exception_fp_ieee_invalid_op 0
		.amdhsa_exception_fp_denorm_src 0
		.amdhsa_exception_fp_ieee_div_zero 0
		.amdhsa_exception_fp_ieee_overflow 0
		.amdhsa_exception_fp_ieee_underflow 0
		.amdhsa_exception_fp_ieee_inexact 0
		.amdhsa_exception_int_div_zero 0
	.end_amdhsa_kernel
	.section	.text._ZN7rocprim6detail19block_reduce_kernelILb1ELb0ELj2ENS0_21wrapped_reduce_configINS_14default_configEdEEdN6thrust11hip_rocprim26transform_input_iterator_tIdNS5_6detail15normal_iteratorINS5_10device_ptrIdEEEEZ4mainEUldE_EEPddNS5_4plusIdEEEEvT4_mT5_T6_T7_,"axG",@progbits,_ZN7rocprim6detail19block_reduce_kernelILb1ELb0ELj2ENS0_21wrapped_reduce_configINS_14default_configEdEEdN6thrust11hip_rocprim26transform_input_iterator_tIdNS5_6detail15normal_iteratorINS5_10device_ptrIdEEEEZ4mainEUldE_EEPddNS5_4plusIdEEEEvT4_mT5_T6_T7_,comdat
.Lfunc_end21:
	.size	_ZN7rocprim6detail19block_reduce_kernelILb1ELb0ELj2ENS0_21wrapped_reduce_configINS_14default_configEdEEdN6thrust11hip_rocprim26transform_input_iterator_tIdNS5_6detail15normal_iteratorINS5_10device_ptrIdEEEEZ4mainEUldE_EEPddNS5_4plusIdEEEEvT4_mT5_T6_T7_, .Lfunc_end21-_ZN7rocprim6detail19block_reduce_kernelILb1ELb0ELj2ENS0_21wrapped_reduce_configINS_14default_configEdEEdN6thrust11hip_rocprim26transform_input_iterator_tIdNS5_6detail15normal_iteratorINS5_10device_ptrIdEEEEZ4mainEUldE_EEPddNS5_4plusIdEEEEvT4_mT5_T6_T7_
                                        ; -- End function
	.section	.AMDGPU.csdata,"",@progbits
; Kernel info:
; codeLenInByte = 1712
; NumSgprs: 18
; NumVgprs: 13
; ScratchSize: 0
; MemoryBound: 0
; FloatMode: 240
; IeeeMode: 1
; LDSByteSize: 128 bytes/workgroup (compile time only)
; SGPRBlocks: 2
; VGPRBlocks: 1
; NumSGPRsForWavesPerEU: 18
; NumVGPRsForWavesPerEU: 13
; Occupancy: 16
; WaveLimiterHint : 1
; COMPUTE_PGM_RSRC2:SCRATCH_EN: 0
; COMPUTE_PGM_RSRC2:USER_SGPR: 6
; COMPUTE_PGM_RSRC2:TRAP_HANDLER: 0
; COMPUTE_PGM_RSRC2:TGID_X_EN: 1
; COMPUTE_PGM_RSRC2:TGID_Y_EN: 0
; COMPUTE_PGM_RSRC2:TGID_Z_EN: 0
; COMPUTE_PGM_RSRC2:TIDIG_COMP_CNT: 0
	.section	.text._ZN7rocprim6detail19block_reduce_kernelILb1ELb0ELj1ENS0_21wrapped_reduce_configINS_14default_configEdEEdN6thrust11hip_rocprim26transform_input_iterator_tIdNS5_6detail15normal_iteratorINS5_10device_ptrIdEEEEZ4mainEUldE_EEPddNS5_4plusIdEEEEvT4_mT5_T6_T7_,"axG",@progbits,_ZN7rocprim6detail19block_reduce_kernelILb1ELb0ELj1ENS0_21wrapped_reduce_configINS_14default_configEdEEdN6thrust11hip_rocprim26transform_input_iterator_tIdNS5_6detail15normal_iteratorINS5_10device_ptrIdEEEEZ4mainEUldE_EEPddNS5_4plusIdEEEEvT4_mT5_T6_T7_,comdat
	.globl	_ZN7rocprim6detail19block_reduce_kernelILb1ELb0ELj1ENS0_21wrapped_reduce_configINS_14default_configEdEEdN6thrust11hip_rocprim26transform_input_iterator_tIdNS5_6detail15normal_iteratorINS5_10device_ptrIdEEEEZ4mainEUldE_EEPddNS5_4plusIdEEEEvT4_mT5_T6_T7_ ; -- Begin function _ZN7rocprim6detail19block_reduce_kernelILb1ELb0ELj1ENS0_21wrapped_reduce_configINS_14default_configEdEEdN6thrust11hip_rocprim26transform_input_iterator_tIdNS5_6detail15normal_iteratorINS5_10device_ptrIdEEEEZ4mainEUldE_EEPddNS5_4plusIdEEEEvT4_mT5_T6_T7_
	.p2align	8
	.type	_ZN7rocprim6detail19block_reduce_kernelILb1ELb0ELj1ENS0_21wrapped_reduce_configINS_14default_configEdEEdN6thrust11hip_rocprim26transform_input_iterator_tIdNS5_6detail15normal_iteratorINS5_10device_ptrIdEEEEZ4mainEUldE_EEPddNS5_4plusIdEEEEvT4_mT5_T6_T7_,@function
_ZN7rocprim6detail19block_reduce_kernelILb1ELb0ELj1ENS0_21wrapped_reduce_configINS_14default_configEdEEdN6thrust11hip_rocprim26transform_input_iterator_tIdNS5_6detail15normal_iteratorINS5_10device_ptrIdEEEEZ4mainEUldE_EEPddNS5_4plusIdEEEEvT4_mT5_T6_T7_: ; @_ZN7rocprim6detail19block_reduce_kernelILb1ELb0ELj1ENS0_21wrapped_reduce_configINS_14default_configEdEEdN6thrust11hip_rocprim26transform_input_iterator_tIdNS5_6detail15normal_iteratorINS5_10device_ptrIdEEEEZ4mainEUldE_EEPddNS5_4plusIdEEEEvT4_mT5_T6_T7_
; %bb.0:
	s_clause 0x2
	s_load_dwordx4 s[12:15], s[4:5], 0x10
	s_load_dwordx2 s[2:3], s[4:5], 0x0
	s_load_dwordx2 s[10:11], s[4:5], 0x20
	s_mov_b32 s1, 0
	s_lshl_b32 s0, s6, 11
	v_lshlrev_b32_e32 v1, 3, v0
	s_lshl_b64 s[4:5], s[0:1], 3
	s_mov_b32 s7, s1
	v_mbcnt_lo_u32_b32 v19, -1, 0
	s_waitcnt lgkmcnt(0)
	s_lshr_b64 s[8:9], s[12:13], 11
	s_add_u32 s1, s2, s4
	s_addc_u32 s2, s3, s5
	v_add_co_u32 v17, s1, s1, v1
	v_add_co_ci_u32_e64 v18, null, s2, 0, s1
	s_cmp_lg_u64 s[8:9], s[6:7]
	s_cbranch_scc0 .LBB22_6
; %bb.1:
	v_add_co_u32 v1, vcc_lo, v17, 0x1000
	v_add_co_ci_u32_e32 v2, vcc_lo, 0, v18, vcc_lo
	v_add_co_u32 v7, vcc_lo, v17, 0x2000
	s_clause 0x2
	global_load_dwordx2 v[3:4], v[17:18], off
	global_load_dwordx2 v[5:6], v[1:2], off offset:-2048
	global_load_dwordx2 v[1:2], v[1:2], off
	v_add_co_ci_u32_e32 v8, vcc_lo, 0, v18, vcc_lo
	v_add_co_u32 v11, vcc_lo, v17, 0x3000
	s_clause 0x1
	global_load_dwordx2 v[9:10], v[7:8], off offset:-2048
	global_load_dwordx2 v[7:8], v[7:8], off
	v_add_co_ci_u32_e32 v12, vcc_lo, 0, v18, vcc_lo
	s_clause 0x1
	global_load_dwordx2 v[13:14], v[11:12], off offset:-2048
	global_load_dwordx2 v[11:12], v[11:12], off
	v_add_co_u32 v15, vcc_lo, 0x3800, v17
	v_add_co_ci_u32_e32 v16, vcc_lo, 0, v18, vcc_lo
	s_mov_b32 s1, exec_lo
	global_load_dwordx2 v[15:16], v[15:16], off
	s_waitcnt vmcnt(6)
	v_add_f64 v[3:4], |v[3:4]|, |v[5:6]|
	s_waitcnt vmcnt(5)
	v_add_f64 v[1:2], v[3:4], |v[1:2]|
	s_waitcnt vmcnt(4)
	v_add_f64 v[1:2], v[1:2], |v[9:10]|
	;; [unrolled: 2-line block ×6, first 2 shown]
	v_mov_b32_dpp v3, v1 quad_perm:[1,0,3,2] row_mask:0xf bank_mask:0xf
	v_mov_b32_dpp v4, v2 quad_perm:[1,0,3,2] row_mask:0xf bank_mask:0xf
	v_add_f64 v[1:2], v[1:2], v[3:4]
	v_mov_b32_dpp v3, v1 quad_perm:[2,3,0,1] row_mask:0xf bank_mask:0xf
	v_mov_b32_dpp v4, v2 quad_perm:[2,3,0,1] row_mask:0xf bank_mask:0xf
	v_add_f64 v[1:2], v[1:2], v[3:4]
	v_mov_b32_dpp v3, v1 row_ror:4 row_mask:0xf bank_mask:0xf
	v_mov_b32_dpp v4, v2 row_ror:4 row_mask:0xf bank_mask:0xf
	v_add_f64 v[1:2], v[1:2], v[3:4]
	v_mov_b32_dpp v3, v1 row_ror:8 row_mask:0xf bank_mask:0xf
	v_mov_b32_dpp v4, v2 row_ror:8 row_mask:0xf bank_mask:0xf
	v_add_f64 v[1:2], v[1:2], v[3:4]
	ds_swizzle_b32 v3, v1 offset:swizzle(BROADCAST,32,15)
	ds_swizzle_b32 v4, v2 offset:swizzle(BROADCAST,32,15)
	s_waitcnt lgkmcnt(0)
	v_add_f64 v[1:2], v[1:2], v[3:4]
	v_mov_b32_e32 v3, 0
	ds_bpermute_b32 v1, v3, v1 offset:124
	ds_bpermute_b32 v2, v3, v2 offset:124
	v_cmpx_eq_u32_e32 0, v19
	s_cbranch_execz .LBB22_3
; %bb.2:
	v_lshrrev_b32_e32 v3, 2, v0
	v_and_b32_e32 v3, 56, v3
	s_waitcnt lgkmcnt(0)
	ds_write_b64 v3, v[1:2]
.LBB22_3:
	s_or_b32 exec_lo, exec_lo, s1
	s_mov_b32 s1, exec_lo
	s_waitcnt lgkmcnt(0)
	s_barrier
	buffer_gl0_inv
	v_cmpx_gt_u32_e32 32, v0
	s_cbranch_execz .LBB22_5
; %bb.4:
	v_and_b32_e32 v5, 7, v19
	v_lshlrev_b32_e32 v1, 3, v5
	v_cmp_ne_u32_e32 vcc_lo, 7, v5
	ds_read_b64 v[1:2], v1
	v_add_co_ci_u32_e32 v3, vcc_lo, 0, v19, vcc_lo
	v_cmp_gt_u32_e32 vcc_lo, 6, v5
	v_lshlrev_b32_e32 v4, 2, v3
	s_waitcnt lgkmcnt(0)
	ds_bpermute_b32 v3, v4, v1
	ds_bpermute_b32 v4, v4, v2
	s_waitcnt lgkmcnt(0)
	v_add_f64 v[1:2], v[1:2], v[3:4]
	v_cndmask_b32_e64 v3, 0, 1, vcc_lo
	v_cmp_gt_u32_e32 vcc_lo, 4, v5
	v_lshlrev_b32_e32 v3, 1, v3
	v_add_lshl_u32 v4, v3, v19, 2
	ds_bpermute_b32 v3, v4, v1
	ds_bpermute_b32 v4, v4, v2
	s_waitcnt lgkmcnt(0)
	v_add_f64 v[1:2], v[1:2], v[3:4]
	v_cndmask_b32_e64 v3, 0, 1, vcc_lo
	v_lshlrev_b32_e32 v3, 2, v3
	v_add_lshl_u32 v4, v3, v19, 2
	ds_bpermute_b32 v3, v4, v1
	ds_bpermute_b32 v4, v4, v2
	s_waitcnt lgkmcnt(0)
	v_add_f64 v[1:2], v[1:2], v[3:4]
.LBB22_5:
	s_or_b32 exec_lo, exec_lo, s1
	s_branch .LBB22_44
.LBB22_6:
                                        ; implicit-def: $vgpr1_vgpr2
	s_cbranch_execz .LBB22_44
; %bb.7:
	s_sub_i32 s9, s12, s0
	s_mov_b32 s0, exec_lo
                                        ; implicit-def: $vgpr1_vgpr2_vgpr3_vgpr4_vgpr5_vgpr6_vgpr7_vgpr8_vgpr9_vgpr10_vgpr11_vgpr12_vgpr13_vgpr14_vgpr15_vgpr16
	v_cmpx_gt_u32_e64 s9, v0
	s_cbranch_execz .LBB22_9
; %bb.8:
	global_load_dwordx2 v[1:2], v[17:18], off
	s_waitcnt vmcnt(0)
	v_and_b32_e32 v2, 0x7fffffff, v2
.LBB22_9:
	s_or_b32 exec_lo, exec_lo, s0
	v_or_b32_e32 v20, 0x100, v0
	v_cmp_gt_u32_e32 vcc_lo, s9, v20
	s_and_saveexec_b32 s1, vcc_lo
	s_cbranch_execz .LBB22_11
; %bb.10:
	v_add_co_u32 v3, s0, 0x800, v17
	v_add_co_ci_u32_e64 v4, s0, 0, v18, s0
	global_load_dwordx2 v[3:4], v[3:4], off
	s_waitcnt vmcnt(0)
	v_and_b32_e32 v4, 0x7fffffff, v4
.LBB22_11:
	s_or_b32 exec_lo, exec_lo, s1
	v_or_b32_e32 v20, 0x200, v0
	v_cmp_gt_u32_e64 s0, s9, v20
	s_and_saveexec_b32 s2, s0
	s_cbranch_execz .LBB22_13
; %bb.12:
	v_add_co_u32 v5, s1, 0x1000, v17
	v_add_co_ci_u32_e64 v6, s1, 0, v18, s1
	global_load_dwordx2 v[5:6], v[5:6], off
	s_waitcnt vmcnt(0)
	v_and_b32_e32 v6, 0x7fffffff, v6
.LBB22_13:
	s_or_b32 exec_lo, exec_lo, s2
	v_or_b32_e32 v20, 0x300, v0
	v_cmp_gt_u32_e64 s1, s9, v20
	s_and_saveexec_b32 s3, s1
	;; [unrolled: 12-line block ×6, first 2 shown]
	s_cbranch_execz .LBB22_23
; %bb.22:
	v_add_co_u32 v15, s8, 0x3800, v17
	v_add_co_ci_u32_e64 v16, s8, 0, v18, s8
	global_load_dwordx2 v[15:16], v[15:16], off
	s_waitcnt vmcnt(0)
	v_and_b32_e32 v16, 0x7fffffff, v16
.LBB22_23:
	s_or_b32 exec_lo, exec_lo, s16
	v_add_f64 v[3:4], v[1:2], v[3:4]
	v_cndmask_b32_e32 v2, v2, v4, vcc_lo
	v_cndmask_b32_e32 v1, v1, v3, vcc_lo
	v_cmp_ne_u32_e32 vcc_lo, 31, v19
	v_add_f64 v[3:4], v[5:6], v[1:2]
	v_add_co_ci_u32_e32 v5, vcc_lo, 0, v19, vcc_lo
	v_add_nc_u32_e32 v6, 1, v19
	v_lshlrev_b32_e32 v5, 2, v5
	v_cndmask_b32_e64 v2, v2, v4, s0
	v_cndmask_b32_e64 v1, v1, v3, s0
	s_min_u32 s0, s9, 0x100
	v_add_f64 v[3:4], v[7:8], v[1:2]
	v_cndmask_b32_e64 v2, v2, v4, s1
	v_cndmask_b32_e64 v1, v1, v3, s1
	s_mov_b32 s1, exec_lo
	v_add_f64 v[3:4], v[9:10], v[1:2]
	v_cndmask_b32_e64 v2, v2, v4, s2
	v_cndmask_b32_e64 v1, v1, v3, s2
	v_add_f64 v[3:4], v[11:12], v[1:2]
	v_cndmask_b32_e64 v2, v2, v4, s3
	v_cndmask_b32_e64 v1, v1, v3, s3
	;; [unrolled: 3-line block ×4, first 2 shown]
	ds_bpermute_b32 v3, v5, v1
	ds_bpermute_b32 v4, v5, v2
	v_and_b32_e32 v5, 0xe0, v0
	v_sub_nc_u32_e64 v5, s0, v5 clamp
	v_cmpx_lt_u32_e64 v6, v5
	s_cbranch_execz .LBB22_25
; %bb.24:
	s_waitcnt lgkmcnt(0)
	v_add_f64 v[1:2], v[1:2], v[3:4]
.LBB22_25:
	s_or_b32 exec_lo, exec_lo, s1
	v_cmp_gt_u32_e32 vcc_lo, 30, v19
	v_add_nc_u32_e32 v6, 2, v19
	s_mov_b32 s1, exec_lo
	s_waitcnt lgkmcnt(1)
	v_cndmask_b32_e64 v3, 0, 1, vcc_lo
	v_lshlrev_b32_e32 v3, 1, v3
	s_waitcnt lgkmcnt(0)
	v_add_lshl_u32 v4, v3, v19, 2
	ds_bpermute_b32 v3, v4, v1
	ds_bpermute_b32 v4, v4, v2
	v_cmpx_lt_u32_e64 v6, v5
	s_cbranch_execz .LBB22_27
; %bb.26:
	s_waitcnt lgkmcnt(0)
	v_add_f64 v[1:2], v[1:2], v[3:4]
.LBB22_27:
	s_or_b32 exec_lo, exec_lo, s1
	v_cmp_gt_u32_e32 vcc_lo, 28, v19
	v_add_nc_u32_e32 v6, 4, v19
	s_mov_b32 s1, exec_lo
	s_waitcnt lgkmcnt(1)
	v_cndmask_b32_e64 v3, 0, 1, vcc_lo
	v_lshlrev_b32_e32 v3, 2, v3
	s_waitcnt lgkmcnt(0)
	v_add_lshl_u32 v4, v3, v19, 2
	ds_bpermute_b32 v3, v4, v1
	ds_bpermute_b32 v4, v4, v2
	;; [unrolled: 17-line block ×4, first 2 shown]
	v_cmpx_lt_u32_e64 v6, v5
	s_cbranch_execz .LBB22_33
; %bb.32:
	s_waitcnt lgkmcnt(0)
	v_add_f64 v[1:2], v[1:2], v[3:4]
.LBB22_33:
	s_or_b32 exec_lo, exec_lo, s1
	s_mov_b32 s1, exec_lo
	v_cmpx_eq_u32_e32 0, v19
	s_cbranch_execz .LBB22_35
; %bb.34:
	s_waitcnt lgkmcnt(1)
	v_lshrrev_b32_e32 v3, 2, v0
	v_and_b32_e32 v3, 56, v3
	ds_write_b64 v3, v[1:2] offset:64
.LBB22_35:
	s_or_b32 exec_lo, exec_lo, s1
	s_mov_b32 s1, exec_lo
	s_waitcnt lgkmcnt(0)
	s_barrier
	buffer_gl0_inv
	v_cmpx_gt_u32_e32 8, v0
	s_cbranch_execz .LBB22_43
; %bb.36:
	v_lshlrev_b32_e32 v1, 3, v19
	v_and_b32_e32 v5, 7, v19
	s_add_i32 s0, s0, 31
	s_mov_b32 s2, exec_lo
	s_lshr_b32 s0, s0, 5
	ds_read_b64 v[1:2], v1 offset:64
	v_cmp_ne_u32_e32 vcc_lo, 7, v5
	v_add_nc_u32_e32 v6, 1, v5
	v_add_co_ci_u32_e32 v3, vcc_lo, 0, v19, vcc_lo
	v_lshlrev_b32_e32 v4, 2, v3
	s_waitcnt lgkmcnt(0)
	ds_bpermute_b32 v3, v4, v1
	ds_bpermute_b32 v4, v4, v2
	v_cmpx_gt_u32_e64 s0, v6
	s_cbranch_execz .LBB22_38
; %bb.37:
	s_waitcnt lgkmcnt(0)
	v_add_f64 v[1:2], v[1:2], v[3:4]
.LBB22_38:
	s_or_b32 exec_lo, exec_lo, s2
	v_cmp_gt_u32_e32 vcc_lo, 6, v5
	v_add_nc_u32_e32 v6, 2, v5
	s_mov_b32 s2, exec_lo
	s_waitcnt lgkmcnt(1)
	v_cndmask_b32_e64 v3, 0, 1, vcc_lo
	v_lshlrev_b32_e32 v3, 1, v3
	s_waitcnt lgkmcnt(0)
	v_add_lshl_u32 v4, v3, v19, 2
	ds_bpermute_b32 v3, v4, v1
	ds_bpermute_b32 v4, v4, v2
	v_cmpx_gt_u32_e64 s0, v6
	s_cbranch_execz .LBB22_40
; %bb.39:
	s_waitcnt lgkmcnt(0)
	v_add_f64 v[1:2], v[1:2], v[3:4]
.LBB22_40:
	s_or_b32 exec_lo, exec_lo, s2
	v_cmp_gt_u32_e32 vcc_lo, 4, v5
	v_add_nc_u32_e32 v5, 4, v5
	s_waitcnt lgkmcnt(1)
	v_cndmask_b32_e64 v3, 0, 1, vcc_lo
	v_cmp_gt_u32_e32 vcc_lo, s0, v5
	v_lshlrev_b32_e32 v3, 2, v3
	s_waitcnt lgkmcnt(0)
	v_add_lshl_u32 v4, v3, v19, 2
	ds_bpermute_b32 v3, v4, v1
	ds_bpermute_b32 v4, v4, v2
	s_and_saveexec_b32 s0, vcc_lo
	s_cbranch_execz .LBB22_42
; %bb.41:
	s_waitcnt lgkmcnt(0)
	v_add_f64 v[1:2], v[1:2], v[3:4]
.LBB22_42:
	s_or_b32 exec_lo, exec_lo, s0
.LBB22_43:
	s_or_b32 exec_lo, exec_lo, s1
.LBB22_44:
	s_mov_b32 s0, exec_lo
	v_cmpx_eq_u32_e32 0, v0
	s_cbranch_execz .LBB22_46
; %bb.45:
	v_add_f64 v[0:1], v[1:2], s[10:11]
	s_lshl_b64 s[0:1], s[6:7], 3
	v_mov_b32_e32 v2, 0
	s_add_u32 s0, s14, s0
	s_addc_u32 s1, s15, s1
	s_cmp_eq_u64 s[12:13], 0
	s_cselect_b32 s2, -1, 0
	v_cndmask_b32_e64 v1, v1, s11, s2
	v_cndmask_b32_e64 v0, v0, s10, s2
	global_store_dwordx2 v2, v[0:1], s[0:1]
.LBB22_46:
	s_endpgm
	.section	.rodata,"a",@progbits
	.p2align	6, 0x0
	.amdhsa_kernel _ZN7rocprim6detail19block_reduce_kernelILb1ELb0ELj1ENS0_21wrapped_reduce_configINS_14default_configEdEEdN6thrust11hip_rocprim26transform_input_iterator_tIdNS5_6detail15normal_iteratorINS5_10device_ptrIdEEEEZ4mainEUldE_EEPddNS5_4plusIdEEEEvT4_mT5_T6_T7_
		.amdhsa_group_segment_fixed_size 128
		.amdhsa_private_segment_fixed_size 0
		.amdhsa_kernarg_size 44
		.amdhsa_user_sgpr_count 6
		.amdhsa_user_sgpr_private_segment_buffer 1
		.amdhsa_user_sgpr_dispatch_ptr 0
		.amdhsa_user_sgpr_queue_ptr 0
		.amdhsa_user_sgpr_kernarg_segment_ptr 1
		.amdhsa_user_sgpr_dispatch_id 0
		.amdhsa_user_sgpr_flat_scratch_init 0
		.amdhsa_user_sgpr_private_segment_size 0
		.amdhsa_wavefront_size32 1
		.amdhsa_uses_dynamic_stack 0
		.amdhsa_system_sgpr_private_segment_wavefront_offset 0
		.amdhsa_system_sgpr_workgroup_id_x 1
		.amdhsa_system_sgpr_workgroup_id_y 0
		.amdhsa_system_sgpr_workgroup_id_z 0
		.amdhsa_system_sgpr_workgroup_info 0
		.amdhsa_system_vgpr_workitem_id 0
		.amdhsa_next_free_vgpr 21
		.amdhsa_next_free_sgpr 17
		.amdhsa_reserve_vcc 1
		.amdhsa_reserve_flat_scratch 0
		.amdhsa_float_round_mode_32 0
		.amdhsa_float_round_mode_16_64 0
		.amdhsa_float_denorm_mode_32 3
		.amdhsa_float_denorm_mode_16_64 3
		.amdhsa_dx10_clamp 1
		.amdhsa_ieee_mode 1
		.amdhsa_fp16_overflow 0
		.amdhsa_workgroup_processor_mode 1
		.amdhsa_memory_ordered 1
		.amdhsa_forward_progress 0
		.amdhsa_shared_vgpr_count 0
		.amdhsa_exception_fp_ieee_invalid_op 0
		.amdhsa_exception_fp_denorm_src 0
		.amdhsa_exception_fp_ieee_div_zero 0
		.amdhsa_exception_fp_ieee_overflow 0
		.amdhsa_exception_fp_ieee_underflow 0
		.amdhsa_exception_fp_ieee_inexact 0
		.amdhsa_exception_int_div_zero 0
	.end_amdhsa_kernel
	.section	.text._ZN7rocprim6detail19block_reduce_kernelILb1ELb0ELj1ENS0_21wrapped_reduce_configINS_14default_configEdEEdN6thrust11hip_rocprim26transform_input_iterator_tIdNS5_6detail15normal_iteratorINS5_10device_ptrIdEEEEZ4mainEUldE_EEPddNS5_4plusIdEEEEvT4_mT5_T6_T7_,"axG",@progbits,_ZN7rocprim6detail19block_reduce_kernelILb1ELb0ELj1ENS0_21wrapped_reduce_configINS_14default_configEdEEdN6thrust11hip_rocprim26transform_input_iterator_tIdNS5_6detail15normal_iteratorINS5_10device_ptrIdEEEEZ4mainEUldE_EEPddNS5_4plusIdEEEEvT4_mT5_T6_T7_,comdat
.Lfunc_end22:
	.size	_ZN7rocprim6detail19block_reduce_kernelILb1ELb0ELj1ENS0_21wrapped_reduce_configINS_14default_configEdEEdN6thrust11hip_rocprim26transform_input_iterator_tIdNS5_6detail15normal_iteratorINS5_10device_ptrIdEEEEZ4mainEUldE_EEPddNS5_4plusIdEEEEvT4_mT5_T6_T7_, .Lfunc_end22-_ZN7rocprim6detail19block_reduce_kernelILb1ELb0ELj1ENS0_21wrapped_reduce_configINS_14default_configEdEEdN6thrust11hip_rocprim26transform_input_iterator_tIdNS5_6detail15normal_iteratorINS5_10device_ptrIdEEEEZ4mainEUldE_EEPddNS5_4plusIdEEEEvT4_mT5_T6_T7_
                                        ; -- End function
	.section	.AMDGPU.csdata,"",@progbits
; Kernel info:
; codeLenInByte = 2200
; NumSgprs: 19
; NumVgprs: 21
; ScratchSize: 0
; MemoryBound: 0
; FloatMode: 240
; IeeeMode: 1
; LDSByteSize: 128 bytes/workgroup (compile time only)
; SGPRBlocks: 2
; VGPRBlocks: 2
; NumSGPRsForWavesPerEU: 19
; NumVGPRsForWavesPerEU: 21
; Occupancy: 16
; WaveLimiterHint : 1
; COMPUTE_PGM_RSRC2:SCRATCH_EN: 0
; COMPUTE_PGM_RSRC2:USER_SGPR: 6
; COMPUTE_PGM_RSRC2:TRAP_HANDLER: 0
; COMPUTE_PGM_RSRC2:TGID_X_EN: 1
; COMPUTE_PGM_RSRC2:TGID_Y_EN: 0
; COMPUTE_PGM_RSRC2:TGID_Z_EN: 0
; COMPUTE_PGM_RSRC2:TIDIG_COMP_CNT: 0
	.text
	.p2alignl 6, 3214868480
	.fill 48, 4, 3214868480
	.type	__hip_cuid_e9f38b038a24c9e9,@object ; @__hip_cuid_e9f38b038a24c9e9
	.section	.bss,"aw",@nobits
	.globl	__hip_cuid_e9f38b038a24c9e9
__hip_cuid_e9f38b038a24c9e9:
	.byte	0                               ; 0x0
	.size	__hip_cuid_e9f38b038a24c9e9, 1

	.ident	"AMD clang version 19.0.0git (https://github.com/RadeonOpenCompute/llvm-project roc-6.4.0 25133 c7fe45cf4b819c5991fe208aaa96edf142730f1d)"
	.section	".note.GNU-stack","",@progbits
	.addrsig
	.addrsig_sym __hip_cuid_e9f38b038a24c9e9
	.amdgpu_metadata
---
amdhsa.kernels:
  - .args:
      - .offset:         0
        .size:           16
        .value_kind:     by_value
      - .offset:         16
        .size:           8
        .value_kind:     by_value
      - .offset:         24
        .size:           8
        .value_kind:     by_value
    .group_segment_fixed_size: 0
    .kernarg_segment_align: 8
    .kernarg_segment_size: 32
    .language:       OpenCL C
    .language_version:
      - 2
      - 0
    .max_flat_workgroup_size: 256
    .name:           _ZN6thrust11hip_rocprim14__parallel_for6kernelILj256ENS0_20__uninitialized_fill7functorINS_10device_ptrIdEEdEEmLj1EEEvT0_T1_S9_
    .private_segment_fixed_size: 0
    .sgpr_count:     18
    .sgpr_spill_count: 0
    .symbol:         _ZN6thrust11hip_rocprim14__parallel_for6kernelILj256ENS0_20__uninitialized_fill7functorINS_10device_ptrIdEEdEEmLj1EEEvT0_T1_S9_.kd
    .uniform_work_group_size: 1
    .uses_dynamic_stack: false
    .vgpr_count:     4
    .vgpr_spill_count: 0
    .wavefront_size: 32
    .workgroup_processor_mode: 1
  - .args:
      - .offset:         0
        .size:           32
        .value_kind:     by_value
      - .offset:         32
        .size:           8
        .value_kind:     by_value
      - .offset:         40
        .size:           8
        .value_kind:     by_value
    .group_segment_fixed_size: 0
    .kernarg_segment_align: 8
    .kernarg_segment_size: 48
    .language:       OpenCL C
    .language_version:
      - 2
      - 0
    .max_flat_workgroup_size: 256
    .name:           _ZN6thrust11hip_rocprim14__parallel_for6kernelILj256ENS0_11__transform17unary_transform_fINS_17counting_iteratorIlNS_11use_defaultES6_S6_EENS_6detail15normal_iteratorINS_10device_ptrIdEEEENS3_14no_stencil_tagEZNS0_6fill_nINS0_5par_tESC_ldEET0_RNS0_16execution_policyIT_EESG_T1_RKT2_EUllE_NS3_21always_true_predicateEEElLj1EEEvSG_SL_SL_
    .private_segment_fixed_size: 0
    .sgpr_count:     14
    .sgpr_spill_count: 0
    .symbol:         _ZN6thrust11hip_rocprim14__parallel_for6kernelILj256ENS0_11__transform17unary_transform_fINS_17counting_iteratorIlNS_11use_defaultES6_S6_EENS_6detail15normal_iteratorINS_10device_ptrIdEEEENS3_14no_stencil_tagEZNS0_6fill_nINS0_5par_tESC_ldEET0_RNS0_16execution_policyIT_EESG_T1_RKT2_EUllE_NS3_21always_true_predicateEEElLj1EEEvSG_SL_SL_.kd
    .uniform_work_group_size: 1
    .uses_dynamic_stack: false
    .vgpr_count:     4
    .vgpr_spill_count: 0
    .wavefront_size: 32
    .workgroup_processor_mode: 1
  - .args:
      - .offset:         0
        .size:           32
        .value_kind:     by_value
      - .offset:         32
        .size:           8
        .value_kind:     by_value
      - .offset:         40
        .size:           8
        .value_kind:     by_value
    .group_segment_fixed_size: 0
    .kernarg_segment_align: 8
    .kernarg_segment_size: 48
    .language:       OpenCL C
    .language_version:
      - 2
      - 0
    .max_flat_workgroup_size: 256
    .name:           _ZN6thrust11hip_rocprim14__parallel_for6kernelILj256ENS0_10for_each_fINS_12zip_iteratorINS_5tupleINS_6detail15normal_iteratorINS_10device_ptrIdEEEESA_SA_NS_9null_typeESB_SB_SB_SB_SB_SB_EEEENS6_16wrapped_functionIZ4mainEUlNS5_IRdddSB_SB_SB_SB_SB_SB_SB_EEE_vEEEElLj1EEEvT0_T1_SL_
    .private_segment_fixed_size: 0
    .sgpr_count:     14
    .sgpr_spill_count: 0
    .symbol:         _ZN6thrust11hip_rocprim14__parallel_for6kernelILj256ENS0_10for_each_fINS_12zip_iteratorINS_5tupleINS_6detail15normal_iteratorINS_10device_ptrIdEEEESA_SA_NS_9null_typeESB_SB_SB_SB_SB_SB_EEEENS6_16wrapped_functionIZ4mainEUlNS5_IRdddSB_SB_SB_SB_SB_SB_SB_EEE_vEEEElLj1EEEvT0_T1_SL_.kd
    .uniform_work_group_size: 1
    .uses_dynamic_stack: false
    .vgpr_count:     8
    .vgpr_spill_count: 0
    .wavefront_size: 32
    .workgroup_processor_mode: 1
  - .args:
      - .address_space:  global
        .offset:         0
        .size:           8
        .value_kind:     global_buffer
      - .offset:         8
        .size:           8
        .value_kind:     by_value
      - .address_space:  global
        .offset:         16
        .size:           8
        .value_kind:     global_buffer
      - .offset:         24
        .size:           8
        .value_kind:     by_value
      - .offset:         32
        .size:           1
        .value_kind:     by_value
    .group_segment_fixed_size: 128
    .kernarg_segment_align: 8
    .kernarg_segment_size: 36
    .language:       OpenCL C
    .language_version:
      - 2
      - 0
    .max_flat_workgroup_size: 256
    .name:           _ZN7rocprim6detail19block_reduce_kernelILb0ELb1ELj1ENS0_21wrapped_reduce_configINS_14default_configEdEEdPdS5_dN6thrust4plusIdEEEEvT4_mT5_T6_T7_
    .private_segment_fixed_size: 0
    .sgpr_count:     19
    .sgpr_spill_count: 0
    .symbol:         _ZN7rocprim6detail19block_reduce_kernelILb0ELb1ELj1ENS0_21wrapped_reduce_configINS_14default_configEdEEdPdS5_dN6thrust4plusIdEEEEvT4_mT5_T6_T7_.kd
    .uniform_work_group_size: 1
    .uses_dynamic_stack: false
    .vgpr_count:     21
    .vgpr_spill_count: 0
    .wavefront_size: 32
    .workgroup_processor_mode: 1
  - .args:
      - .address_space:  global
        .offset:         0
        .size:           8
        .value_kind:     global_buffer
      - .offset:         8
        .size:           8
        .value_kind:     by_value
      - .address_space:  global
        .offset:         16
        .size:           8
        .value_kind:     global_buffer
      - .offset:         24
        .size:           8
        .value_kind:     by_value
      - .offset:         32
        .size:           1
        .value_kind:     by_value
    .group_segment_fixed_size: 128
    .kernarg_segment_align: 8
    .kernarg_segment_size: 36
    .language:       OpenCL C
    .language_version:
      - 2
      - 0
    .max_flat_workgroup_size: 256
    .name:           _ZN7rocprim6detail19block_reduce_kernelILb1ELb1ELj2ENS0_21wrapped_reduce_configINS_14default_configEdEEdPdS5_dN6thrust4plusIdEEEEvT4_mT5_T6_T7_
    .private_segment_fixed_size: 0
    .sgpr_count:     27
    .sgpr_spill_count: 0
    .symbol:         _ZN7rocprim6detail19block_reduce_kernelILb1ELb1ELj2ENS0_21wrapped_reduce_configINS_14default_configEdEEdPdS5_dN6thrust4plusIdEEEEvT4_mT5_T6_T7_.kd
    .uniform_work_group_size: 1
    .uses_dynamic_stack: false
    .vgpr_count:     37
    .vgpr_spill_count: 0
    .wavefront_size: 32
    .workgroup_processor_mode: 1
  - .args:
      - .address_space:  global
        .offset:         0
        .size:           8
        .value_kind:     global_buffer
      - .offset:         8
        .size:           8
        .value_kind:     by_value
      - .address_space:  global
        .offset:         16
        .size:           8
        .value_kind:     global_buffer
      - .offset:         24
        .size:           8
        .value_kind:     by_value
      - .offset:         32
        .size:           1
        .value_kind:     by_value
    .group_segment_fixed_size: 128
    .kernarg_segment_align: 8
    .kernarg_segment_size: 36
    .language:       OpenCL C
    .language_version:
      - 2
      - 0
    .max_flat_workgroup_size: 256
    .name:           _ZN7rocprim6detail19block_reduce_kernelILb1ELb1ELj4ENS0_21wrapped_reduce_configINS_14default_configEdEEdPdS5_dN6thrust4plusIdEEEEvT4_mT5_T6_T7_
    .private_segment_fixed_size: 0
    .sgpr_count:     46
    .sgpr_spill_count: 0
    .symbol:         _ZN7rocprim6detail19block_reduce_kernelILb1ELb1ELj4ENS0_21wrapped_reduce_configINS_14default_configEdEEdPdS5_dN6thrust4plusIdEEEEvT4_mT5_T6_T7_.kd
    .uniform_work_group_size: 1
    .uses_dynamic_stack: false
    .vgpr_count:     68
    .vgpr_spill_count: 0
    .wavefront_size: 32
    .workgroup_processor_mode: 1
  - .args:
      - .address_space:  global
        .offset:         0
        .size:           8
        .value_kind:     global_buffer
      - .offset:         8
        .size:           8
        .value_kind:     by_value
      - .address_space:  global
        .offset:         16
        .size:           8
        .value_kind:     global_buffer
      - .offset:         24
        .size:           8
        .value_kind:     by_value
      - .offset:         32
        .size:           1
        .value_kind:     by_value
    .group_segment_fixed_size: 128
    .kernarg_segment_align: 8
    .kernarg_segment_size: 36
    .language:       OpenCL C
    .language_version:
      - 2
      - 0
    .max_flat_workgroup_size: 256
    .name:           _ZN7rocprim6detail19block_reduce_kernelILb1ELb1ELj8ENS0_21wrapped_reduce_configINS_14default_configEdEEdPdS5_dN6thrust4plusIdEEEEvT4_mT5_T6_T7_
    .private_segment_fixed_size: 0
    .sgpr_count:     76
    .sgpr_spill_count: 0
    .symbol:         _ZN7rocprim6detail19block_reduce_kernelILb1ELb1ELj8ENS0_21wrapped_reduce_configINS_14default_configEdEEdPdS5_dN6thrust4plusIdEEEEvT4_mT5_T6_T7_.kd
    .uniform_work_group_size: 1
    .uses_dynamic_stack: false
    .vgpr_count:     132
    .vgpr_spill_count: 0
    .wavefront_size: 32
    .workgroup_processor_mode: 1
  - .args:
      - .address_space:  global
        .offset:         0
        .size:           8
        .value_kind:     global_buffer
      - .offset:         8
        .size:           8
        .value_kind:     by_value
      - .address_space:  global
        .offset:         16
        .size:           8
        .value_kind:     global_buffer
      - .offset:         24
        .size:           8
        .value_kind:     by_value
      - .offset:         32
        .size:           1
        .value_kind:     by_value
    .group_segment_fixed_size: 128
    .kernarg_segment_align: 8
    .kernarg_segment_size: 36
    .language:       OpenCL C
    .language_version:
      - 2
      - 0
    .max_flat_workgroup_size: 256
    .name:           _ZN7rocprim6detail19block_reduce_kernelILb1ELb1ELj16ENS0_21wrapped_reduce_configINS_14default_configEdEEdPdS5_dN6thrust4plusIdEEEEvT4_mT5_T6_T7_
    .private_segment_fixed_size: 28
    .sgpr_count:     107
    .sgpr_spill_count: 38
    .symbol:         _ZN7rocprim6detail19block_reduce_kernelILb1ELb1ELj16ENS0_21wrapped_reduce_configINS_14default_configEdEEdPdS5_dN6thrust4plusIdEEEEvT4_mT5_T6_T7_.kd
    .uniform_work_group_size: 1
    .uses_dynamic_stack: false
    .vgpr_count:     255
    .vgpr_spill_count: 6
    .wavefront_size: 32
    .workgroup_processor_mode: 1
  - .args:
      - .address_space:  global
        .offset:         0
        .size:           8
        .value_kind:     global_buffer
      - .offset:         8
        .size:           8
        .value_kind:     by_value
      - .address_space:  global
        .offset:         16
        .size:           8
        .value_kind:     global_buffer
      - .offset:         24
        .size:           8
        .value_kind:     by_value
      - .offset:         32
        .size:           1
        .value_kind:     by_value
    .group_segment_fixed_size: 128
    .kernarg_segment_align: 8
    .kernarg_segment_size: 36
    .language:       OpenCL C
    .language_version:
      - 2
      - 0
    .max_flat_workgroup_size: 256
    .name:           _ZN7rocprim6detail19block_reduce_kernelILb1ELb0ELj16ENS0_21wrapped_reduce_configINS_14default_configEdEEdPdS5_dN6thrust4plusIdEEEEvT4_mT5_T6_T7_
    .private_segment_fixed_size: 0
    .sgpr_count:     18
    .sgpr_spill_count: 0
    .symbol:         _ZN7rocprim6detail19block_reduce_kernelILb1ELb0ELj16ENS0_21wrapped_reduce_configINS_14default_configEdEEdPdS5_dN6thrust4plusIdEEEEvT4_mT5_T6_T7_.kd
    .uniform_work_group_size: 1
    .uses_dynamic_stack: false
    .vgpr_count:     8
    .vgpr_spill_count: 0
    .wavefront_size: 32
    .workgroup_processor_mode: 1
  - .args:
      - .address_space:  global
        .offset:         0
        .size:           8
        .value_kind:     global_buffer
      - .offset:         8
        .size:           8
        .value_kind:     by_value
      - .address_space:  global
        .offset:         16
        .size:           8
        .value_kind:     global_buffer
      - .offset:         24
        .size:           8
        .value_kind:     by_value
      - .offset:         32
        .size:           1
        .value_kind:     by_value
    .group_segment_fixed_size: 128
    .kernarg_segment_align: 8
    .kernarg_segment_size: 36
    .language:       OpenCL C
    .language_version:
      - 2
      - 0
    .max_flat_workgroup_size: 256
    .name:           _ZN7rocprim6detail19block_reduce_kernelILb1ELb0ELj8ENS0_21wrapped_reduce_configINS_14default_configEdEEdPdS5_dN6thrust4plusIdEEEEvT4_mT5_T6_T7_
    .private_segment_fixed_size: 0
    .sgpr_count:     18
    .sgpr_spill_count: 0
    .symbol:         _ZN7rocprim6detail19block_reduce_kernelILb1ELb0ELj8ENS0_21wrapped_reduce_configINS_14default_configEdEEdPdS5_dN6thrust4plusIdEEEEvT4_mT5_T6_T7_.kd
    .uniform_work_group_size: 1
    .uses_dynamic_stack: false
    .vgpr_count:     8
    .vgpr_spill_count: 0
    .wavefront_size: 32
    .workgroup_processor_mode: 1
  - .args:
      - .address_space:  global
        .offset:         0
        .size:           8
        .value_kind:     global_buffer
      - .offset:         8
        .size:           8
        .value_kind:     by_value
      - .address_space:  global
        .offset:         16
        .size:           8
        .value_kind:     global_buffer
      - .offset:         24
        .size:           8
        .value_kind:     by_value
      - .offset:         32
        .size:           1
        .value_kind:     by_value
    .group_segment_fixed_size: 128
    .kernarg_segment_align: 8
    .kernarg_segment_size: 36
    .language:       OpenCL C
    .language_version:
      - 2
      - 0
    .max_flat_workgroup_size: 256
    .name:           _ZN7rocprim6detail19block_reduce_kernelILb1ELb0ELj4ENS0_21wrapped_reduce_configINS_14default_configEdEEdPdS5_dN6thrust4plusIdEEEEvT4_mT5_T6_T7_
    .private_segment_fixed_size: 0
    .sgpr_count:     18
    .sgpr_spill_count: 0
    .symbol:         _ZN7rocprim6detail19block_reduce_kernelILb1ELb0ELj4ENS0_21wrapped_reduce_configINS_14default_configEdEEdPdS5_dN6thrust4plusIdEEEEvT4_mT5_T6_T7_.kd
    .uniform_work_group_size: 1
    .uses_dynamic_stack: false
    .vgpr_count:     9
    .vgpr_spill_count: 0
    .wavefront_size: 32
    .workgroup_processor_mode: 1
  - .args:
      - .address_space:  global
        .offset:         0
        .size:           8
        .value_kind:     global_buffer
      - .offset:         8
        .size:           8
        .value_kind:     by_value
      - .address_space:  global
        .offset:         16
        .size:           8
        .value_kind:     global_buffer
      - .offset:         24
        .size:           8
        .value_kind:     by_value
      - .offset:         32
        .size:           1
        .value_kind:     by_value
    .group_segment_fixed_size: 128
    .kernarg_segment_align: 8
    .kernarg_segment_size: 36
    .language:       OpenCL C
    .language_version:
      - 2
      - 0
    .max_flat_workgroup_size: 256
    .name:           _ZN7rocprim6detail19block_reduce_kernelILb1ELb0ELj2ENS0_21wrapped_reduce_configINS_14default_configEdEEdPdS5_dN6thrust4plusIdEEEEvT4_mT5_T6_T7_
    .private_segment_fixed_size: 0
    .sgpr_count:     18
    .sgpr_spill_count: 0
    .symbol:         _ZN7rocprim6detail19block_reduce_kernelILb1ELb0ELj2ENS0_21wrapped_reduce_configINS_14default_configEdEEdPdS5_dN6thrust4plusIdEEEEvT4_mT5_T6_T7_.kd
    .uniform_work_group_size: 1
    .uses_dynamic_stack: false
    .vgpr_count:     13
    .vgpr_spill_count: 0
    .wavefront_size: 32
    .workgroup_processor_mode: 1
  - .args:
      - .address_space:  global
        .offset:         0
        .size:           8
        .value_kind:     global_buffer
      - .offset:         8
        .size:           8
        .value_kind:     by_value
      - .address_space:  global
        .offset:         16
        .size:           8
        .value_kind:     global_buffer
      - .offset:         24
        .size:           8
        .value_kind:     by_value
      - .offset:         32
        .size:           1
        .value_kind:     by_value
    .group_segment_fixed_size: 128
    .kernarg_segment_align: 8
    .kernarg_segment_size: 36
    .language:       OpenCL C
    .language_version:
      - 2
      - 0
    .max_flat_workgroup_size: 256
    .name:           _ZN7rocprim6detail19block_reduce_kernelILb1ELb0ELj1ENS0_21wrapped_reduce_configINS_14default_configEdEEdPdS5_dN6thrust4plusIdEEEEvT4_mT5_T6_T7_
    .private_segment_fixed_size: 0
    .sgpr_count:     19
    .sgpr_spill_count: 0
    .symbol:         _ZN7rocprim6detail19block_reduce_kernelILb1ELb0ELj1ENS0_21wrapped_reduce_configINS_14default_configEdEEdPdS5_dN6thrust4plusIdEEEEvT4_mT5_T6_T7_.kd
    .uniform_work_group_size: 1
    .uses_dynamic_stack: false
    .vgpr_count:     21
    .vgpr_spill_count: 0
    .wavefront_size: 32
    .workgroup_processor_mode: 1
  - .args:
      - .offset:         0
        .size:           16
        .value_kind:     by_value
      - .offset:         16
        .size:           8
        .value_kind:     by_value
      - .address_space:  global
        .offset:         24
        .size:           8
        .value_kind:     global_buffer
      - .offset:         32
        .size:           8
        .value_kind:     by_value
      - .offset:         40
        .size:           1
        .value_kind:     by_value
    .group_segment_fixed_size: 128
    .kernarg_segment_align: 8
    .kernarg_segment_size: 44
    .language:       OpenCL C
    .language_version:
      - 2
      - 0
    .max_flat_workgroup_size: 256
    .name:           _ZN7rocprim6detail19block_reduce_kernelILb0ELb1ELj1ENS0_21wrapped_reduce_configINS_14default_configEdEEdN6thrust11hip_rocprim26transform_input_iterator_tIdNS5_6detail15normal_iteratorINS5_10device_ptrIdEEEEZ4mainEUldE_EEPddNS5_4plusIdEEEEvT4_mT5_T6_T7_
    .private_segment_fixed_size: 0
    .sgpr_count:     19
    .sgpr_spill_count: 0
    .symbol:         _ZN7rocprim6detail19block_reduce_kernelILb0ELb1ELj1ENS0_21wrapped_reduce_configINS_14default_configEdEEdN6thrust11hip_rocprim26transform_input_iterator_tIdNS5_6detail15normal_iteratorINS5_10device_ptrIdEEEEZ4mainEUldE_EEPddNS5_4plusIdEEEEvT4_mT5_T6_T7_.kd
    .uniform_work_group_size: 1
    .uses_dynamic_stack: false
    .vgpr_count:     21
    .vgpr_spill_count: 0
    .wavefront_size: 32
    .workgroup_processor_mode: 1
  - .args:
      - .offset:         0
        .size:           16
        .value_kind:     by_value
      - .offset:         16
        .size:           8
        .value_kind:     by_value
      - .address_space:  global
        .offset:         24
        .size:           8
        .value_kind:     global_buffer
      - .offset:         32
        .size:           8
        .value_kind:     by_value
      - .offset:         40
        .size:           1
        .value_kind:     by_value
    .group_segment_fixed_size: 128
    .kernarg_segment_align: 8
    .kernarg_segment_size: 44
    .language:       OpenCL C
    .language_version:
      - 2
      - 0
    .max_flat_workgroup_size: 256
    .name:           _ZN7rocprim6detail19block_reduce_kernelILb1ELb1ELj2ENS0_21wrapped_reduce_configINS_14default_configEdEEdN6thrust11hip_rocprim26transform_input_iterator_tIdNS5_6detail15normal_iteratorINS5_10device_ptrIdEEEEZ4mainEUldE_EEPddNS5_4plusIdEEEEvT4_mT5_T6_T7_
    .private_segment_fixed_size: 0
    .sgpr_count:     27
    .sgpr_spill_count: 0
    .symbol:         _ZN7rocprim6detail19block_reduce_kernelILb1ELb1ELj2ENS0_21wrapped_reduce_configINS_14default_configEdEEdN6thrust11hip_rocprim26transform_input_iterator_tIdNS5_6detail15normal_iteratorINS5_10device_ptrIdEEEEZ4mainEUldE_EEPddNS5_4plusIdEEEEvT4_mT5_T6_T7_.kd
    .uniform_work_group_size: 1
    .uses_dynamic_stack: false
    .vgpr_count:     37
    .vgpr_spill_count: 0
    .wavefront_size: 32
    .workgroup_processor_mode: 1
  - .args:
      - .offset:         0
        .size:           16
        .value_kind:     by_value
      - .offset:         16
        .size:           8
        .value_kind:     by_value
      - .address_space:  global
        .offset:         24
        .size:           8
        .value_kind:     global_buffer
      - .offset:         32
        .size:           8
        .value_kind:     by_value
      - .offset:         40
        .size:           1
        .value_kind:     by_value
    .group_segment_fixed_size: 128
    .kernarg_segment_align: 8
    .kernarg_segment_size: 44
    .language:       OpenCL C
    .language_version:
      - 2
      - 0
    .max_flat_workgroup_size: 256
    .name:           _ZN7rocprim6detail19block_reduce_kernelILb1ELb1ELj4ENS0_21wrapped_reduce_configINS_14default_configEdEEdN6thrust11hip_rocprim26transform_input_iterator_tIdNS5_6detail15normal_iteratorINS5_10device_ptrIdEEEEZ4mainEUldE_EEPddNS5_4plusIdEEEEvT4_mT5_T6_T7_
    .private_segment_fixed_size: 0
    .sgpr_count:     44
    .sgpr_spill_count: 0
    .symbol:         _ZN7rocprim6detail19block_reduce_kernelILb1ELb1ELj4ENS0_21wrapped_reduce_configINS_14default_configEdEEdN6thrust11hip_rocprim26transform_input_iterator_tIdNS5_6detail15normal_iteratorINS5_10device_ptrIdEEEEZ4mainEUldE_EEPddNS5_4plusIdEEEEvT4_mT5_T6_T7_.kd
    .uniform_work_group_size: 1
    .uses_dynamic_stack: false
    .vgpr_count:     68
    .vgpr_spill_count: 0
    .wavefront_size: 32
    .workgroup_processor_mode: 1
  - .args:
      - .offset:         0
        .size:           16
        .value_kind:     by_value
      - .offset:         16
        .size:           8
        .value_kind:     by_value
      - .address_space:  global
        .offset:         24
        .size:           8
        .value_kind:     global_buffer
      - .offset:         32
        .size:           8
        .value_kind:     by_value
      - .offset:         40
        .size:           1
        .value_kind:     by_value
    .group_segment_fixed_size: 128
    .kernarg_segment_align: 8
    .kernarg_segment_size: 44
    .language:       OpenCL C
    .language_version:
      - 2
      - 0
    .max_flat_workgroup_size: 256
    .name:           _ZN7rocprim6detail19block_reduce_kernelILb1ELb1ELj8ENS0_21wrapped_reduce_configINS_14default_configEdEEdN6thrust11hip_rocprim26transform_input_iterator_tIdNS5_6detail15normal_iteratorINS5_10device_ptrIdEEEEZ4mainEUldE_EEPddNS5_4plusIdEEEEvT4_mT5_T6_T7_
    .private_segment_fixed_size: 0
    .sgpr_count:     76
    .sgpr_spill_count: 0
    .symbol:         _ZN7rocprim6detail19block_reduce_kernelILb1ELb1ELj8ENS0_21wrapped_reduce_configINS_14default_configEdEEdN6thrust11hip_rocprim26transform_input_iterator_tIdNS5_6detail15normal_iteratorINS5_10device_ptrIdEEEEZ4mainEUldE_EEPddNS5_4plusIdEEEEvT4_mT5_T6_T7_.kd
    .uniform_work_group_size: 1
    .uses_dynamic_stack: false
    .vgpr_count:     132
    .vgpr_spill_count: 0
    .wavefront_size: 32
    .workgroup_processor_mode: 1
  - .args:
      - .offset:         0
        .size:           16
        .value_kind:     by_value
      - .offset:         16
        .size:           8
        .value_kind:     by_value
      - .address_space:  global
        .offset:         24
        .size:           8
        .value_kind:     global_buffer
      - .offset:         32
        .size:           8
        .value_kind:     by_value
      - .offset:         40
        .size:           1
        .value_kind:     by_value
    .group_segment_fixed_size: 128
    .kernarg_segment_align: 8
    .kernarg_segment_size: 44
    .language:       OpenCL C
    .language_version:
      - 2
      - 0
    .max_flat_workgroup_size: 256
    .name:           _ZN7rocprim6detail19block_reduce_kernelILb1ELb1ELj16ENS0_21wrapped_reduce_configINS_14default_configEdEEdN6thrust11hip_rocprim26transform_input_iterator_tIdNS5_6detail15normal_iteratorINS5_10device_ptrIdEEEEZ4mainEUldE_EEPddNS5_4plusIdEEEEvT4_mT5_T6_T7_
    .private_segment_fixed_size: 28
    .sgpr_count:     107
    .sgpr_spill_count: 36
    .symbol:         _ZN7rocprim6detail19block_reduce_kernelILb1ELb1ELj16ENS0_21wrapped_reduce_configINS_14default_configEdEEdN6thrust11hip_rocprim26transform_input_iterator_tIdNS5_6detail15normal_iteratorINS5_10device_ptrIdEEEEZ4mainEUldE_EEPddNS5_4plusIdEEEEvT4_mT5_T6_T7_.kd
    .uniform_work_group_size: 1
    .uses_dynamic_stack: false
    .vgpr_count:     255
    .vgpr_spill_count: 6
    .wavefront_size: 32
    .workgroup_processor_mode: 1
  - .args:
      - .offset:         0
        .size:           16
        .value_kind:     by_value
      - .offset:         16
        .size:           8
        .value_kind:     by_value
      - .address_space:  global
        .offset:         24
        .size:           8
        .value_kind:     global_buffer
      - .offset:         32
        .size:           8
        .value_kind:     by_value
      - .offset:         40
        .size:           1
        .value_kind:     by_value
    .group_segment_fixed_size: 128
    .kernarg_segment_align: 8
    .kernarg_segment_size: 44
    .language:       OpenCL C
    .language_version:
      - 2
      - 0
    .max_flat_workgroup_size: 256
    .name:           _ZN7rocprim6detail19block_reduce_kernelILb1ELb0ELj16ENS0_21wrapped_reduce_configINS_14default_configEdEEdN6thrust11hip_rocprim26transform_input_iterator_tIdNS5_6detail15normal_iteratorINS5_10device_ptrIdEEEEZ4mainEUldE_EEPddNS5_4plusIdEEEEvT4_mT5_T6_T7_
    .private_segment_fixed_size: 0
    .sgpr_count:     16
    .sgpr_spill_count: 0
    .symbol:         _ZN7rocprim6detail19block_reduce_kernelILb1ELb0ELj16ENS0_21wrapped_reduce_configINS_14default_configEdEEdN6thrust11hip_rocprim26transform_input_iterator_tIdNS5_6detail15normal_iteratorINS5_10device_ptrIdEEEEZ4mainEUldE_EEPddNS5_4plusIdEEEEvT4_mT5_T6_T7_.kd
    .uniform_work_group_size: 1
    .uses_dynamic_stack: false
    .vgpr_count:     8
    .vgpr_spill_count: 0
    .wavefront_size: 32
    .workgroup_processor_mode: 1
  - .args:
      - .offset:         0
        .size:           16
        .value_kind:     by_value
      - .offset:         16
        .size:           8
        .value_kind:     by_value
      - .address_space:  global
        .offset:         24
        .size:           8
        .value_kind:     global_buffer
      - .offset:         32
        .size:           8
        .value_kind:     by_value
      - .offset:         40
        .size:           1
        .value_kind:     by_value
    .group_segment_fixed_size: 128
    .kernarg_segment_align: 8
    .kernarg_segment_size: 44
    .language:       OpenCL C
    .language_version:
      - 2
      - 0
    .max_flat_workgroup_size: 256
    .name:           _ZN7rocprim6detail19block_reduce_kernelILb1ELb0ELj8ENS0_21wrapped_reduce_configINS_14default_configEdEEdN6thrust11hip_rocprim26transform_input_iterator_tIdNS5_6detail15normal_iteratorINS5_10device_ptrIdEEEEZ4mainEUldE_EEPddNS5_4plusIdEEEEvT4_mT5_T6_T7_
    .private_segment_fixed_size: 0
    .sgpr_count:     16
    .sgpr_spill_count: 0
    .symbol:         _ZN7rocprim6detail19block_reduce_kernelILb1ELb0ELj8ENS0_21wrapped_reduce_configINS_14default_configEdEEdN6thrust11hip_rocprim26transform_input_iterator_tIdNS5_6detail15normal_iteratorINS5_10device_ptrIdEEEEZ4mainEUldE_EEPddNS5_4plusIdEEEEvT4_mT5_T6_T7_.kd
    .uniform_work_group_size: 1
    .uses_dynamic_stack: false
    .vgpr_count:     8
    .vgpr_spill_count: 0
    .wavefront_size: 32
    .workgroup_processor_mode: 1
  - .args:
      - .offset:         0
        .size:           16
        .value_kind:     by_value
      - .offset:         16
        .size:           8
        .value_kind:     by_value
      - .address_space:  global
        .offset:         24
        .size:           8
        .value_kind:     global_buffer
      - .offset:         32
        .size:           8
        .value_kind:     by_value
      - .offset:         40
        .size:           1
        .value_kind:     by_value
    .group_segment_fixed_size: 128
    .kernarg_segment_align: 8
    .kernarg_segment_size: 44
    .language:       OpenCL C
    .language_version:
      - 2
      - 0
    .max_flat_workgroup_size: 256
    .name:           _ZN7rocprim6detail19block_reduce_kernelILb1ELb0ELj4ENS0_21wrapped_reduce_configINS_14default_configEdEEdN6thrust11hip_rocprim26transform_input_iterator_tIdNS5_6detail15normal_iteratorINS5_10device_ptrIdEEEEZ4mainEUldE_EEPddNS5_4plusIdEEEEvT4_mT5_T6_T7_
    .private_segment_fixed_size: 0
    .sgpr_count:     18
    .sgpr_spill_count: 0
    .symbol:         _ZN7rocprim6detail19block_reduce_kernelILb1ELb0ELj4ENS0_21wrapped_reduce_configINS_14default_configEdEEdN6thrust11hip_rocprim26transform_input_iterator_tIdNS5_6detail15normal_iteratorINS5_10device_ptrIdEEEEZ4mainEUldE_EEPddNS5_4plusIdEEEEvT4_mT5_T6_T7_.kd
    .uniform_work_group_size: 1
    .uses_dynamic_stack: false
    .vgpr_count:     9
    .vgpr_spill_count: 0
    .wavefront_size: 32
    .workgroup_processor_mode: 1
  - .args:
      - .offset:         0
        .size:           16
        .value_kind:     by_value
      - .offset:         16
        .size:           8
        .value_kind:     by_value
      - .address_space:  global
        .offset:         24
        .size:           8
        .value_kind:     global_buffer
      - .offset:         32
        .size:           8
        .value_kind:     by_value
      - .offset:         40
        .size:           1
        .value_kind:     by_value
    .group_segment_fixed_size: 128
    .kernarg_segment_align: 8
    .kernarg_segment_size: 44
    .language:       OpenCL C
    .language_version:
      - 2
      - 0
    .max_flat_workgroup_size: 256
    .name:           _ZN7rocprim6detail19block_reduce_kernelILb1ELb0ELj2ENS0_21wrapped_reduce_configINS_14default_configEdEEdN6thrust11hip_rocprim26transform_input_iterator_tIdNS5_6detail15normal_iteratorINS5_10device_ptrIdEEEEZ4mainEUldE_EEPddNS5_4plusIdEEEEvT4_mT5_T6_T7_
    .private_segment_fixed_size: 0
    .sgpr_count:     18
    .sgpr_spill_count: 0
    .symbol:         _ZN7rocprim6detail19block_reduce_kernelILb1ELb0ELj2ENS0_21wrapped_reduce_configINS_14default_configEdEEdN6thrust11hip_rocprim26transform_input_iterator_tIdNS5_6detail15normal_iteratorINS5_10device_ptrIdEEEEZ4mainEUldE_EEPddNS5_4plusIdEEEEvT4_mT5_T6_T7_.kd
    .uniform_work_group_size: 1
    .uses_dynamic_stack: false
    .vgpr_count:     13
    .vgpr_spill_count: 0
    .wavefront_size: 32
    .workgroup_processor_mode: 1
  - .args:
      - .offset:         0
        .size:           16
        .value_kind:     by_value
      - .offset:         16
        .size:           8
        .value_kind:     by_value
      - .address_space:  global
        .offset:         24
        .size:           8
        .value_kind:     global_buffer
      - .offset:         32
        .size:           8
        .value_kind:     by_value
      - .offset:         40
        .size:           1
        .value_kind:     by_value
    .group_segment_fixed_size: 128
    .kernarg_segment_align: 8
    .kernarg_segment_size: 44
    .language:       OpenCL C
    .language_version:
      - 2
      - 0
    .max_flat_workgroup_size: 256
    .name:           _ZN7rocprim6detail19block_reduce_kernelILb1ELb0ELj1ENS0_21wrapped_reduce_configINS_14default_configEdEEdN6thrust11hip_rocprim26transform_input_iterator_tIdNS5_6detail15normal_iteratorINS5_10device_ptrIdEEEEZ4mainEUldE_EEPddNS5_4plusIdEEEEvT4_mT5_T6_T7_
    .private_segment_fixed_size: 0
    .sgpr_count:     19
    .sgpr_spill_count: 0
    .symbol:         _ZN7rocprim6detail19block_reduce_kernelILb1ELb0ELj1ENS0_21wrapped_reduce_configINS_14default_configEdEEdN6thrust11hip_rocprim26transform_input_iterator_tIdNS5_6detail15normal_iteratorINS5_10device_ptrIdEEEEZ4mainEUldE_EEPddNS5_4plusIdEEEEvT4_mT5_T6_T7_.kd
    .uniform_work_group_size: 1
    .uses_dynamic_stack: false
    .vgpr_count:     21
    .vgpr_spill_count: 0
    .wavefront_size: 32
    .workgroup_processor_mode: 1
amdhsa.target:   amdgcn-amd-amdhsa--gfx1030
amdhsa.version:
  - 1
  - 2
...

	.end_amdgpu_metadata
